;; amdgpu-corpus repo=ROCm/rocFFT kind=compiled arch=gfx1030 opt=O3
	.text
	.amdgcn_target "amdgcn-amd-amdhsa--gfx1030"
	.amdhsa_code_object_version 6
	.protected	bluestein_single_back_len3750_dim1_dp_op_CI_CI ; -- Begin function bluestein_single_back_len3750_dim1_dp_op_CI_CI
	.globl	bluestein_single_back_len3750_dim1_dp_op_CI_CI
	.p2align	8
	.type	bluestein_single_back_len3750_dim1_dp_op_CI_CI,@function
bluestein_single_back_len3750_dim1_dp_op_CI_CI: ; @bluestein_single_back_len3750_dim1_dp_op_CI_CI
; %bb.0:
	s_load_dwordx4 s[12:15], s[4:5], 0x28
	v_mul_u32_u24_e32 v1, 0x20d, v0
	s_mov_b64 s[30:31], s[2:3]
	s_mov_b64 s[28:29], s[0:1]
	v_mov_b32_e32 v2, 0
	s_add_u32 s28, s28, s7
	v_lshrrev_b32_e32 v3, 16, v1
	s_addc_u32 s29, s29, 0
	s_mov_b32 s0, exec_lo
	v_add_nc_u32_e32 v1, s6, v3
	s_waitcnt lgkmcnt(0)
	v_cmpx_gt_u64_e64 s[12:13], v[1:2]
	s_cbranch_execz .LBB0_2
; %bb.1:
	s_clause 0x2
	s_load_dwordx4 s[8:11], s[4:5], 0x0
	s_load_dwordx4 s[16:19], s[4:5], 0x18
	s_load_dwordx2 s[12:13], s[4:5], 0x38
	v_mul_lo_u16 v2, 0x7d, v3
	v_mov_b32_e32 v193, 4
	s_mov_b32 s23, 0xbfd3c6ef
	s_mov_b32 s25, 0xbfe9e377
	v_sub_nc_u16 v135, v0, v2
	v_and_b32_e32 v6, 0xffff, v135
	v_and_b32_e32 v186, 0xff, v135
	v_lshlrev_b32_e32 v134, 4, v6
	v_mov_b32_e32 v10, v6
	s_waitcnt lgkmcnt(0)
	s_load_dwordx4 s[0:3], s[18:19], 0x0
	s_mov_b32 s19, 0xbfebb67a
	v_add_co_u32 v168, null, 0x7d, v10
	v_mov_b32_e32 v219, v10
	v_and_b32_e32 v194, 0xff, v168
	v_add_co_u32 v169, null, 0xfa, v219
	v_add_co_u32 v170, null, 0x177, v219
	;; [unrolled: 1-line block ×4, first 2 shown]
	v_add_nc_u32_e32 v136, 0x2ee, v219
	v_add_nc_u32_e32 v137, 0x36b, v219
	s_waitcnt lgkmcnt(0)
	v_mad_u64_u32 v[4:5], null, s2, v1, 0
	v_add_co_u32 v120, s2, s8, v134
	v_add_co_ci_u32_e64 v121, null, s9, 0, s2
	v_add_nc_u32_e32 v138, 0x3e8, v219
	v_add_nc_u32_e32 v139, 0x465, v219
	v_mov_b32_e32 v0, v5
	v_mad_u64_u32 v[2:3], null, s3, v1, v[0:1]
	v_mov_b32_e32 v5, v2
	buffer_store_dword v4, off, s[28:31], 0 ; 4-byte Folded Spill
	buffer_store_dword v5, off, s[28:31], 0 offset:4 ; 4-byte Folded Spill
	global_load_dwordx4 v[11:14], v134, s[8:9]
	s_load_dwordx4 s[4:7], s[16:17], 0x0
	s_mov_b32 s16, 0xe8584caa
	s_mov_b32 s17, 0x3febb67a
	;; [unrolled: 1-line block ×3, first 2 shown]
	s_waitcnt lgkmcnt(0)
	v_mad_u64_u32 v[2:3], null, s6, v1, 0
	s_mul_i32 s2, s5, 0x4e20
	s_mul_hi_u32 s3, s4, 0x4e20
	s_mul_hi_u32 s6, s4, 0xffff6b90
	s_add_i32 s2, s3, s2
	s_mul_i32 s3, s4, 0x4e20
	s_sub_i32 s6, s6, s4
	v_mov_b32_e32 v0, v3
	v_mad_u64_u32 v[0:1], null, s7, v1, v[0:1]
	s_mov_b32 s7, 0xbfe2cf23
	v_mov_b32_e32 v3, v0
	v_mad_u64_u32 v[0:1], null, s4, v6, 0
	s_mul_i32 s4, s4, 0xffff6b90
	v_mad_u64_u32 v[4:5], null, s5, v6, v[1:2]
	v_lshlrev_b64 v[2:3], 4, v[2:3]
	s_mul_i32 s5, s5, 0xffff6b90
	s_add_i32 s5, s6, s5
	v_mov_b32_e32 v1, v4
	v_add_co_u32 v2, vcc_lo, s14, v2
	v_add_co_ci_u32_e32 v3, vcc_lo, s15, v3, vcc_lo
	v_lshlrev_b64 v[0:1], 4, v[0:1]
	s_mov_b32 s15, 0xbfee6f0e
	v_add_co_u32 v8, vcc_lo, v2, v0
	v_add_co_ci_u32_e32 v9, vcc_lo, v3, v1, vcc_lo
	global_load_dwordx4 v[0:3], v[8:9], off
	v_add_co_u32 v8, vcc_lo, v8, s3
	v_add_co_ci_u32_e32 v9, vcc_lo, s2, v9, vcc_lo
	s_waitcnt vmcnt(1)
	buffer_store_dword v11, off, s[28:31], 0 offset:40 ; 4-byte Folded Spill
	buffer_store_dword v12, off, s[28:31], 0 offset:44 ; 4-byte Folded Spill
	buffer_store_dword v13, off, s[28:31], 0 offset:48 ; 4-byte Folded Spill
	buffer_store_dword v14, off, s[28:31], 0 offset:52 ; 4-byte Folded Spill
	s_waitcnt vmcnt(0)
	v_mul_f64 v[4:5], v[2:3], v[13:14]
	v_fma_f64 v[4:5], v[0:1], v[11:12], v[4:5]
	v_mul_f64 v[0:1], v[0:1], v[13:14]
	v_fma_f64 v[6:7], v[2:3], v[11:12], -v[0:1]
	global_load_dwordx4 v[0:3], v[8:9], off
	ds_write_b128 v134, v[4:7]
	v_add_co_u32 v4, vcc_lo, 0x4800, v120
	v_add_co_ci_u32_e32 v5, vcc_lo, 0, v121, vcc_lo
	v_add_co_u32 v8, vcc_lo, v8, s3
	v_add_co_ci_u32_e32 v9, vcc_lo, s2, v9, vcc_lo
	global_load_dwordx4 v[11:14], v[4:5], off offset:1568
	s_waitcnt vmcnt(0)
	buffer_store_dword v11, off, s[28:31], 0 offset:24 ; 4-byte Folded Spill
	buffer_store_dword v12, off, s[28:31], 0 offset:28 ; 4-byte Folded Spill
	buffer_store_dword v13, off, s[28:31], 0 offset:32 ; 4-byte Folded Spill
	buffer_store_dword v14, off, s[28:31], 0 offset:36 ; 4-byte Folded Spill
	v_mul_f64 v[4:5], v[2:3], v[13:14]
	v_fma_f64 v[4:5], v[0:1], v[11:12], v[4:5]
	v_mul_f64 v[0:1], v[0:1], v[13:14]
	v_fma_f64 v[6:7], v[2:3], v[11:12], -v[0:1]
	global_load_dwordx4 v[0:3], v[8:9], off
	ds_write_b128 v134, v[4:7] offset:20000
	v_add_co_u32 v4, vcc_lo, 0x9800, v120
	v_add_co_ci_u32_e32 v5, vcc_lo, 0, v121, vcc_lo
	v_add_co_u32 v8, vcc_lo, v8, s4
	v_add_co_ci_u32_e32 v9, vcc_lo, s5, v9, vcc_lo
	global_load_dwordx4 v[11:14], v[4:5], off offset:1088
	s_waitcnt vmcnt(0)
	buffer_store_dword v11, off, s[28:31], 0 offset:8 ; 4-byte Folded Spill
	buffer_store_dword v12, off, s[28:31], 0 offset:12 ; 4-byte Folded Spill
	;; [unrolled: 1-line block ×4, first 2 shown]
	v_mul_f64 v[4:5], v[2:3], v[13:14]
	v_fma_f64 v[4:5], v[0:1], v[11:12], v[4:5]
	v_mul_f64 v[0:1], v[0:1], v[13:14]
	v_fma_f64 v[6:7], v[2:3], v[11:12], -v[0:1]
	ds_write_b128 v134, v[4:7] offset:40000
	global_load_dwordx4 v[0:3], v[8:9], off
	global_load_dwordx4 v[10:13], v134, s[8:9] offset:2000
	v_add_co_u32 v8, vcc_lo, v8, s3
	v_add_co_ci_u32_e32 v9, vcc_lo, s2, v9, vcc_lo
	s_mov_b32 s8, 0x4755a5e
	s_mov_b32 s9, 0x3fe2cf23
	;; [unrolled: 1-line block ×3, first 2 shown]
	s_waitcnt vmcnt(0)
	buffer_store_dword v10, off, s[28:31], 0 offset:72 ; 4-byte Folded Spill
	buffer_store_dword v11, off, s[28:31], 0 offset:76 ; 4-byte Folded Spill
	buffer_store_dword v12, off, s[28:31], 0 offset:80 ; 4-byte Folded Spill
	buffer_store_dword v13, off, s[28:31], 0 offset:84 ; 4-byte Folded Spill
	v_mul_f64 v[4:5], v[2:3], v[12:13]
	v_fma_f64 v[4:5], v[0:1], v[10:11], v[4:5]
	v_mul_f64 v[0:1], v[0:1], v[12:13]
	v_fma_f64 v[6:7], v[2:3], v[10:11], -v[0:1]
	global_load_dwordx4 v[0:3], v[8:9], off
	ds_write_b128 v134, v[4:7] offset:2000
	v_add_co_u32 v4, vcc_lo, 0x5000, v120
	v_add_co_ci_u32_e32 v5, vcc_lo, 0, v121, vcc_lo
	v_add_co_u32 v8, vcc_lo, v8, s3
	v_add_co_ci_u32_e32 v9, vcc_lo, s2, v9, vcc_lo
	global_load_dwordx4 v[10:13], v[4:5], off offset:1520
	s_waitcnt vmcnt(0)
	buffer_store_dword v10, off, s[28:31], 0 offset:88 ; 4-byte Folded Spill
	buffer_store_dword v11, off, s[28:31], 0 offset:92 ; 4-byte Folded Spill
	buffer_store_dword v12, off, s[28:31], 0 offset:96 ; 4-byte Folded Spill
	buffer_store_dword v13, off, s[28:31], 0 offset:100 ; 4-byte Folded Spill
	v_mul_f64 v[4:5], v[2:3], v[12:13]
	v_fma_f64 v[4:5], v[0:1], v[10:11], v[4:5]
	v_mul_f64 v[0:1], v[0:1], v[12:13]
	v_fma_f64 v[6:7], v[2:3], v[10:11], -v[0:1]
	global_load_dwordx4 v[0:3], v[8:9], off
	ds_write_b128 v134, v[4:7] offset:22000
	v_add_co_u32 v4, vcc_lo, 0xa000, v120
	v_add_co_ci_u32_e32 v5, vcc_lo, 0, v121, vcc_lo
	v_add_co_u32 v8, vcc_lo, v8, s4
	v_add_co_ci_u32_e32 v9, vcc_lo, s5, v9, vcc_lo
	global_load_dwordx4 v[10:13], v[4:5], off offset:1040
	;; [unrolled: 16-line block ×23, first 2 shown]
	s_mov_b32 s4, 0x372fe950
	s_mov_b32 s5, 0x3fd3c6ef
	;; [unrolled: 1-line block ×3, first 2 shown]
	s_waitcnt vmcnt(0)
	buffer_store_dword v10, off, s[28:31], 0 offset:440 ; 4-byte Folded Spill
	buffer_store_dword v11, off, s[28:31], 0 offset:444 ; 4-byte Folded Spill
	;; [unrolled: 1-line block ×4, first 2 shown]
	v_mul_f64 v[4:5], v[2:3], v[12:13]
	v_fma_f64 v[4:5], v[0:1], v[10:11], v[4:5]
	v_mul_f64 v[0:1], v[0:1], v[12:13]
	v_fma_f64 v[6:7], v[2:3], v[10:11], -v[0:1]
	global_load_dwordx4 v[0:3], v[8:9], off
	ds_write_b128 v134, v[4:7] offset:56000
	v_add_co_u32 v4, vcc_lo, 0x4000, v120
	v_add_co_ci_u32_e32 v5, vcc_lo, 0, v121, vcc_lo
	v_add_co_u32 v8, vcc_lo, v8, s3
	v_add_co_ci_u32_e32 v9, vcc_lo, s2, v9, vcc_lo
	global_load_dwordx4 v[10:13], v[4:5], off offset:1616
	s_waitcnt vmcnt(0)
	buffer_store_dword v10, off, s[28:31], 0 offset:456 ; 4-byte Folded Spill
	buffer_store_dword v11, off, s[28:31], 0 offset:460 ; 4-byte Folded Spill
	;; [unrolled: 1-line block ×4, first 2 shown]
	v_mul_f64 v[4:5], v[2:3], v[12:13]
	v_fma_f64 v[4:5], v[0:1], v[10:11], v[4:5]
	v_mul_f64 v[0:1], v[0:1], v[12:13]
	v_fma_f64 v[6:7], v[2:3], v[10:11], -v[0:1]
	global_load_dwordx4 v[0:3], v[8:9], off
	ds_write_b128 v134, v[4:7] offset:18000
	v_add_co_u32 v4, vcc_lo, 0x9000, v120
	v_add_co_ci_u32_e32 v5, vcc_lo, 0, v121, vcc_lo
	global_load_dwordx4 v[10:13], v[4:5], off offset:1136
	s_waitcnt vmcnt(0)
	buffer_store_dword v10, off, s[28:31], 0 offset:472 ; 4-byte Folded Spill
	buffer_store_dword v11, off, s[28:31], 0 offset:476 ; 4-byte Folded Spill
	;; [unrolled: 1-line block ×4, first 2 shown]
	v_mul_f64 v[4:5], v[2:3], v[12:13]
	v_fma_f64 v[4:5], v[0:1], v[10:11], v[4:5]
	v_mul_f64 v[0:1], v[0:1], v[12:13]
	v_fma_f64 v[6:7], v[2:3], v[10:11], -v[0:1]
	v_add_co_u32 v0, vcc_lo, v8, s3
	v_add_co_ci_u32_e32 v1, vcc_lo, s2, v9, vcc_lo
	s_mov_b32 s2, 0x134454ff
	s_mov_b32 s3, 0x3fee6f0e
	;; [unrolled: 1-line block ×3, first 2 shown]
	global_load_dwordx4 v[0:3], v[0:1], off
	ds_write_b128 v134, v[4:7] offset:38000
	v_add_co_u32 v4, vcc_lo, 0xe000, v120
	v_add_co_ci_u32_e32 v5, vcc_lo, 0, v121, vcc_lo
	v_cmp_gt_u16_e32 vcc_lo, 0x4b, v135
	global_load_dwordx4 v[4:7], v[4:5], off offset:656
	s_waitcnt vmcnt(0)
	v_mov_b32_e32 v9, v7
	v_mov_b32_e32 v8, v6
	;; [unrolled: 1-line block ×4, first 2 shown]
	v_mul_f64 v[4:5], v[2:3], v[8:9]
	v_fma_f64 v[4:5], v[0:1], v[6:7], v[4:5]
	v_mul_f64 v[0:1], v[0:1], v[8:9]
	buffer_store_dword v6, off, s[28:31], 0 offset:56 ; 4-byte Folded Spill
	buffer_store_dword v7, off, s[28:31], 0 offset:60 ; 4-byte Folded Spill
	buffer_store_dword v8, off, s[28:31], 0 offset:64 ; 4-byte Folded Spill
	buffer_store_dword v9, off, s[28:31], 0 offset:68 ; 4-byte Folded Spill
	v_fma_f64 v[6:7], v[2:3], v[6:7], -v[0:1]
	ds_write_b128 v134, v[4:7] offset:58000
	s_waitcnt lgkmcnt(0)
	s_waitcnt_vscnt null, 0x0
	s_barrier
	buffer_gl0_inv
	ds_read_b128 v[16:19], v134
	ds_read_b128 v[36:39], v134 offset:20000
	ds_read_b128 v[40:43], v134 offset:40000
	ds_read_b128 v[44:47], v134 offset:2000
	ds_read_b128 v[60:63], v134 offset:22000
	ds_read_b128 v[140:143], v134 offset:42000
	ds_read_b128 v[64:67], v134 offset:4000
	ds_read_b128 v[70:73], v134 offset:24000
	ds_read_b128 v[80:83], v134 offset:44000
	ds_read_b128 v[76:79], v134 offset:6000
	ds_read_b128 v[96:99], v134 offset:26000
	ds_read_b128 v[130:133], v134 offset:46000
	ds_read_b128 v[100:103], v134 offset:8000
	ds_read_b128 v[106:109], v134 offset:28000
	ds_read_b128 v[126:129], v134 offset:48000
	ds_read_b128 v[116:119], v134 offset:10000
	ds_read_b128 v[112:115], v134 offset:30000
	ds_read_b128 v[122:125], v134 offset:50000
	ds_read_b128 v[92:95], v134 offset:12000
	ds_read_b128 v[84:87], v134 offset:32000
	ds_read_b128 v[88:91], v134 offset:52000
	ds_read_b128 v[56:59], v134 offset:14000
	ds_read_b128 v[48:51], v134 offset:34000
	ds_read_b128 v[52:55], v134 offset:54000
	ds_read_b128 v[32:35], v134 offset:16000
	ds_read_b128 v[24:27], v134 offset:36000
	ds_read_b128 v[28:31], v134 offset:56000
	ds_read_b128 v[8:11], v134 offset:18000
	ds_read_b128 v[0:3], v134 offset:38000
	ds_read_b128 v[4:7], v134 offset:58000
	s_waitcnt lgkmcnt(27)
	v_add_f64 v[14:15], v[36:37], v[40:41]
	v_add_f64 v[20:21], v[38:39], -v[42:43]
	v_add_f64 v[12:13], v[16:17], v[36:37]
	v_add_f64 v[22:23], v[38:39], v[42:43]
	v_add_f64 v[36:37], v[36:37], -v[40:41]
	s_waitcnt lgkmcnt(18)
	v_add_f64 v[74:75], v[96:97], v[130:131]
	s_waitcnt lgkmcnt(0)
	v_add_f64 v[110:111], v[112:113], v[122:123]
	s_barrier
	buffer_gl0_inv
	v_fma_f64 v[14:15], v[14:15], -0.5, v[16:17]
	v_add_f64 v[12:13], v[12:13], v[40:41]
	v_fma_f64 v[22:23], v[22:23], -0.5, v[18:19]
	v_add_f64 v[40:41], v[62:63], -v[142:143]
	v_fma_f64 v[74:75], v[74:75], -0.5, v[76:77]
	v_fma_f64 v[110:111], v[110:111], -0.5, v[116:117]
	v_fma_f64 v[16:17], v[20:21], s[16:17], v[14:15]
	v_fma_f64 v[20:21], v[20:21], s[18:19], v[14:15]
	v_add_f64 v[14:15], v[18:19], v[38:39]
	v_add_f64 v[38:39], v[60:61], v[140:141]
	v_fma_f64 v[18:19], v[36:37], s[18:19], v[22:23]
	v_fma_f64 v[22:23], v[36:37], s[16:17], v[22:23]
	v_add_f64 v[36:37], v[44:45], v[60:61]
	v_add_f64 v[60:61], v[60:61], -v[140:141]
	v_add_f64 v[14:15], v[14:15], v[42:43]
	v_fma_f64 v[38:39], v[38:39], -0.5, v[44:45]
	v_add_f64 v[42:43], v[62:63], v[142:143]
	v_add_f64 v[36:37], v[36:37], v[140:141]
	v_fma_f64 v[44:45], v[40:41], s[16:17], v[38:39]
	v_fma_f64 v[40:41], v[40:41], s[18:19], v[38:39]
	v_add_f64 v[38:39], v[46:47], v[62:63]
	v_fma_f64 v[42:43], v[42:43], -0.5, v[46:47]
	v_add_f64 v[62:63], v[70:71], v[80:81]
	v_add_f64 v[38:39], v[38:39], v[142:143]
	v_fma_f64 v[46:47], v[60:61], s[18:19], v[42:43]
	v_fma_f64 v[42:43], v[60:61], s[16:17], v[42:43]
	v_add_f64 v[60:61], v[64:65], v[70:71]
	v_fma_f64 v[62:63], v[62:63], -0.5, v[64:65]
	v_add_f64 v[64:65], v[72:73], -v[82:83]
	v_add_f64 v[60:61], v[60:61], v[80:81]
	v_fma_f64 v[68:69], v[64:65], s[16:17], v[62:63]
	v_fma_f64 v[64:65], v[64:65], s[18:19], v[62:63]
	v_add_f64 v[62:63], v[66:67], v[72:73]
	v_add_f64 v[72:73], v[72:73], v[82:83]
	;; [unrolled: 1-line block ×3, first 2 shown]
	v_fma_f64 v[66:67], v[72:73], -0.5, v[66:67]
	v_add_f64 v[72:73], v[70:71], -v[80:81]
	v_add_f64 v[82:83], v[98:99], v[132:133]
	v_fma_f64 v[70:71], v[72:73], s[18:19], v[66:67]
	v_fma_f64 v[66:67], v[72:73], s[16:17], v[66:67]
	v_add_f64 v[72:73], v[76:77], v[96:97]
	v_add_f64 v[76:77], v[98:99], -v[132:133]
	v_add_f64 v[96:97], v[96:97], -v[130:131]
	v_add_f64 v[72:73], v[72:73], v[130:131]
	v_fma_f64 v[80:81], v[76:77], s[16:17], v[74:75]
	v_fma_f64 v[76:77], v[76:77], s[18:19], v[74:75]
	v_add_f64 v[74:75], v[78:79], v[98:99]
	v_fma_f64 v[78:79], v[82:83], -0.5, v[78:79]
	v_add_f64 v[98:99], v[106:107], v[126:127]
	v_add_f64 v[74:75], v[74:75], v[132:133]
	v_fma_f64 v[82:83], v[96:97], s[18:19], v[78:79]
	v_fma_f64 v[78:79], v[96:97], s[16:17], v[78:79]
	v_add_f64 v[96:97], v[100:101], v[106:107]
	v_fma_f64 v[98:99], v[98:99], -0.5, v[100:101]
	v_add_f64 v[100:101], v[108:109], -v[128:129]
	v_add_f64 v[96:97], v[96:97], v[126:127]
	v_fma_f64 v[104:105], v[100:101], s[16:17], v[98:99]
	v_fma_f64 v[100:101], v[100:101], s[18:19], v[98:99]
	v_add_f64 v[98:99], v[102:103], v[108:109]
	v_add_f64 v[108:109], v[108:109], v[128:129]
	;; [unrolled: 1-line block ×3, first 2 shown]
	v_fma_f64 v[102:103], v[108:109], -0.5, v[102:103]
	v_add_f64 v[108:109], v[106:107], -v[126:127]
	v_fma_f64 v[106:107], v[108:109], s[18:19], v[102:103]
	v_fma_f64 v[102:103], v[108:109], s[16:17], v[102:103]
	v_add_f64 v[108:109], v[116:117], v[112:113]
	v_add_f64 v[116:117], v[114:115], -v[124:125]
	v_add_f64 v[112:113], v[112:113], -v[122:123]
	v_add_f64 v[108:109], v[108:109], v[122:123]
	v_fma_f64 v[128:129], v[116:117], s[16:17], v[110:111]
	v_fma_f64 v[116:117], v[116:117], s[18:19], v[110:111]
	v_add_f64 v[110:111], v[118:119], v[114:115]
	v_add_f64 v[114:115], v[114:115], v[124:125]
	v_mul_lo_u16 v122, 0xab, v186
	v_lshrrev_b16 v187, 9, v122
	v_mul_lo_u16 v122, v187, 3
	v_sub_nc_u16 v122, v135, v122
	v_add_f64 v[110:111], v[110:111], v[124:125]
	v_fma_f64 v[114:115], v[114:115], -0.5, v[118:119]
	v_and_b32_e32 v195, 0xff, v122
	v_lshlrev_b32_e32 v122, 6, v195
	v_fma_f64 v[130:131], v[112:113], s[18:19], v[114:115]
	v_fma_f64 v[118:119], v[112:113], s[16:17], v[114:115]
	v_add_f64 v[114:115], v[84:85], v[88:89]
	v_add_f64 v[112:113], v[92:93], v[84:85]
	v_add_f64 v[84:85], v[84:85], -v[88:89]
	v_fma_f64 v[92:93], v[114:115], -0.5, v[92:93]
	v_add_f64 v[114:115], v[86:87], -v[90:91]
	v_add_f64 v[112:113], v[112:113], v[88:89]
	v_fma_f64 v[124:125], v[114:115], s[16:17], v[92:93]
	v_fma_f64 v[92:93], v[114:115], s[18:19], v[92:93]
	v_add_f64 v[114:115], v[94:95], v[86:87]
	v_add_f64 v[86:87], v[86:87], v[90:91]
	;; [unrolled: 1-line block ×3, first 2 shown]
	v_fma_f64 v[86:87], v[86:87], -0.5, v[94:95]
	v_fma_f64 v[126:127], v[84:85], s[18:19], v[86:87]
	v_fma_f64 v[94:95], v[84:85], s[16:17], v[86:87]
	v_add_f64 v[86:87], v[48:49], v[52:53]
	v_add_f64 v[84:85], v[56:57], v[48:49]
	v_add_f64 v[48:49], v[48:49], -v[52:53]
	v_fma_f64 v[56:57], v[86:87], -0.5, v[56:57]
	v_add_f64 v[86:87], v[50:51], -v[54:55]
	v_add_f64 v[84:85], v[84:85], v[52:53]
	v_fma_f64 v[88:89], v[86:87], s[16:17], v[56:57]
	v_fma_f64 v[56:57], v[86:87], s[18:19], v[56:57]
	v_add_f64 v[86:87], v[58:59], v[50:51]
	v_add_f64 v[50:51], v[50:51], v[54:55]
	v_add_f64 v[86:87], v[86:87], v[54:55]
	v_fma_f64 v[50:51], v[50:51], -0.5, v[58:59]
	v_fma_f64 v[90:91], v[48:49], s[18:19], v[50:51]
	v_fma_f64 v[58:59], v[48:49], s[16:17], v[50:51]
	v_add_f64 v[50:51], v[24:25], v[28:29]
	v_add_f64 v[48:49], v[32:33], v[24:25]
	v_add_f64 v[24:25], v[24:25], -v[28:29]
	v_fma_f64 v[32:33], v[50:51], -0.5, v[32:33]
	v_add_f64 v[50:51], v[26:27], -v[30:31]
	v_add_f64 v[48:49], v[48:49], v[28:29]
	v_add_f64 v[28:29], v[2:3], -v[6:7]
	v_fma_f64 v[52:53], v[50:51], s[16:17], v[32:33]
	v_fma_f64 v[32:33], v[50:51], s[18:19], v[32:33]
	v_add_f64 v[50:51], v[34:35], v[26:27]
	v_add_f64 v[26:27], v[26:27], v[30:31]
	;; [unrolled: 1-line block ×3, first 2 shown]
	v_fma_f64 v[26:27], v[26:27], -0.5, v[34:35]
	v_fma_f64 v[54:55], v[24:25], s[18:19], v[26:27]
	v_fma_f64 v[34:35], v[24:25], s[16:17], v[26:27]
	v_add_f64 v[26:27], v[0:1], v[4:5]
	v_add_f64 v[24:25], v[8:9], v[0:1]
	v_add_f64 v[0:1], v[0:1], -v[4:5]
	v_fma_f64 v[26:27], v[26:27], -0.5, v[8:9]
	v_add_f64 v[24:25], v[24:25], v[4:5]
	v_fma_f64 v[8:9], v[28:29], s[16:17], v[26:27]
	v_fma_f64 v[28:29], v[28:29], s[18:19], v[26:27]
	v_add_f64 v[26:27], v[10:11], v[2:3]
	v_add_f64 v[2:3], v[2:3], v[6:7]
	v_add_f64 v[26:27], v[26:27], v[6:7]
	v_fma_f64 v[2:3], v[2:3], -0.5, v[10:11]
	v_fma_f64 v[10:11], v[0:1], s[18:19], v[2:3]
	v_fma_f64 v[30:31], v[0:1], s[16:17], v[2:3]
	v_mul_lo_u16 v0, v135, 3
	v_lshlrev_b32_sdwa v0, v193, v0 dst_sel:DWORD dst_unused:UNUSED_PAD src0_sel:DWORD src1_sel:WORD_0
	buffer_store_dword v0, off, s[28:31], 0 offset:532 ; 4-byte Folded Spill
	ds_write_b128 v0, v[12:15]
	ds_write_b128 v0, v[16:19] offset:16
	ds_write_b128 v0, v[20:23] offset:32
	v_mul_u32_u24_e32 v0, 3, v168
	v_lshlrev_b32_e32 v0, 4, v0
	buffer_store_dword v0, off, s[28:31], 0 offset:516 ; 4-byte Folded Spill
	ds_write_b128 v0, v[36:39]
	ds_write_b128 v0, v[44:47] offset:16
	ds_write_b128 v0, v[40:43] offset:32
	v_mul_u32_u24_e32 v0, 3, v169
	v_lshlrev_b32_e32 v0, 4, v0
	;; [unrolled: 6-line block ×9, first 2 shown]
	buffer_store_dword v0, off, s[28:31], 0 offset:492 ; 4-byte Folded Spill
	ds_write_b128 v0, v[24:27]
	ds_write_b128 v0, v[8:11] offset:16
	ds_write_b128 v0, v[28:31] offset:32
	s_waitcnt lgkmcnt(0)
	s_waitcnt_vscnt null, 0x0
	s_barrier
	buffer_gl0_inv
	ds_read_b128 v[28:31], v134
	ds_read_b128 v[104:107], v134 offset:12000
	ds_read_b128 v[108:111], v134 offset:24000
	;; [unrolled: 1-line block ×29, first 2 shown]
	s_clause 0x3
	global_load_dwordx4 v[124:127], v122, s[10:11] offset:48
	global_load_dwordx4 v[128:131], v122, s[10:11] offset:32
	;; [unrolled: 1-line block ×3, first 2 shown]
	global_load_dwordx4 v[140:143], v122, s[10:11]
	s_waitcnt vmcnt(0)
	buffer_store_dword v140, off, s[28:31], 0 offset:584 ; 4-byte Folded Spill
	buffer_store_dword v141, off, s[28:31], 0 offset:588 ; 4-byte Folded Spill
	;; [unrolled: 1-line block ×16, first 2 shown]
	s_waitcnt lgkmcnt(28)
	v_mul_f64 v[122:123], v[106:107], v[142:143]
	v_fma_f64 v[160:161], v[104:105], v[140:141], -v[122:123]
	v_mul_f64 v[104:105], v[104:105], v[142:143]
	v_fma_f64 v[150:151], v[106:107], v[140:141], v[104:105]
	s_waitcnt lgkmcnt(27)
	v_mul_f64 v[104:105], v[110:111], v[138:139]
	v_fma_f64 v[162:163], v[108:109], v[136:137], -v[104:105]
	v_mul_f64 v[104:105], v[108:109], v[138:139]
	v_fma_f64 v[152:153], v[110:111], v[136:137], v[104:105]
	;; [unrolled: 5-line block ×4, first 2 shown]
	v_mul_lo_u16 v104, 0xab, v194
	v_lshrrev_b16 v208, 9, v104
	v_mul_lo_u16 v104, v208, 3
	v_sub_nc_u16 v104, v168, v104
	v_and_b32_e32 v209, 0xff, v104
	v_lshlrev_b32_e32 v104, 6, v209
	s_clause 0x3
	global_load_dwordx4 v[106:109], v104, s[10:11] offset:48
	global_load_dwordx4 v[110:113], v104, s[10:11] offset:32
	;; [unrolled: 1-line block ×3, first 2 shown]
	global_load_dwordx4 v[122:125], v104, s[10:11]
	s_waitcnt vmcnt(0) lgkmcnt(23)
	v_mul_f64 v[104:105], v[102:103], v[124:125]
	v_fma_f64 v[154:155], v[100:101], v[122:123], -v[104:105]
	buffer_store_dword v122, off, s[28:31], 0 offset:944 ; 4-byte Folded Spill
	buffer_store_dword v123, off, s[28:31], 0 offset:948 ; 4-byte Folded Spill
	;; [unrolled: 1-line block ×16, first 2 shown]
	v_mul_f64 v[100:101], v[100:101], v[124:125]
	v_fma_f64 v[128:129], v[102:103], v[122:123], v[100:101]
	s_waitcnt lgkmcnt(22)
	v_mul_f64 v[100:101], v[98:99], v[116:117]
	v_fma_f64 v[156:157], v[96:97], v[114:115], -v[100:101]
	v_mul_f64 v[96:97], v[96:97], v[116:117]
	v_fma_f64 v[140:141], v[98:99], v[114:115], v[96:97]
	s_waitcnt lgkmcnt(21)
	v_mul_f64 v[96:97], v[94:95], v[112:113]
	v_fma_f64 v[158:159], v[92:93], v[110:111], -v[96:97]
	;; [unrolled: 5-line block ×3, first 2 shown]
	v_mul_f64 v[88:89], v[88:89], v[108:109]
	v_mov_b32_e32 v92, 0xaaab
	v_fma_f64 v[142:143], v[90:91], v[106:107], v[88:89]
	v_mul_u32_u24_sdwa v88, v169, v92 dst_sel:DWORD dst_unused:UNUSED_PAD src0_sel:WORD_0 src1_sel:DWORD
	v_lshrrev_b32_e32 v210, 17, v88
	v_mul_lo_u16 v88, v210, 3
	v_sub_nc_u16 v211, v169, v88
	v_lshlrev_b16 v88, 2, v211
	v_lshlrev_b32_sdwa v88, v193, v88 dst_sel:DWORD dst_unused:UNUSED_PAD src0_sel:DWORD src1_sel:WORD_0
	s_clause 0x3
	global_load_dwordx4 v[93:96], v88, s[10:11] offset:48
	global_load_dwordx4 v[97:100], v88, s[10:11] offset:32
	;; [unrolled: 1-line block ×3, first 2 shown]
	global_load_dwordx4 v[105:108], v88, s[10:11]
	s_waitcnt vmcnt(0) lgkmcnt(18)
	v_mul_f64 v[88:89], v[86:87], v[107:108]
	v_fma_f64 v[130:131], v[84:85], v[105:106], -v[88:89]
	buffer_store_dword v105, off, s[28:31], 0 offset:1224 ; 4-byte Folded Spill
	buffer_store_dword v106, off, s[28:31], 0 offset:1228 ; 4-byte Folded Spill
	;; [unrolled: 1-line block ×16, first 2 shown]
	v_mul_f64 v[84:85], v[84:85], v[107:108]
	v_fma_f64 v[84:85], v[86:87], v[105:106], v[84:85]
	s_waitcnt lgkmcnt(17)
	v_mul_f64 v[86:87], v[82:83], v[103:104]
	v_fma_f64 v[132:133], v[80:81], v[101:102], -v[86:87]
	v_mul_f64 v[80:81], v[80:81], v[103:104]
	v_fma_f64 v[88:89], v[82:83], v[101:102], v[80:81]
	s_waitcnt lgkmcnt(16)
	v_mul_f64 v[80:81], v[78:79], v[99:100]
	v_fma_f64 v[164:165], v[76:77], v[97:98], -v[80:81]
	;; [unrolled: 5-line block ×3, first 2 shown]
	v_mul_f64 v[72:73], v[72:73], v[95:96]
	v_fma_f64 v[72:73], v[74:75], v[93:94], v[72:73]
	v_mul_u32_u24_sdwa v74, v170, v92 dst_sel:DWORD dst_unused:UNUSED_PAD src0_sel:WORD_0 src1_sel:DWORD
	v_lshrrev_b32_e32 v212, 17, v74
	v_mul_lo_u16 v74, v212, 3
	v_sub_nc_u16 v213, v170, v74
	v_lshlrev_b16 v74, 2, v213
	v_lshlrev_b32_sdwa v74, v193, v74 dst_sel:DWORD dst_unused:UNUSED_PAD src0_sel:DWORD src1_sel:WORD_0
	s_clause 0x3
	global_load_dwordx4 v[93:96], v74, s[10:11] offset:48
	global_load_dwordx4 v[97:100], v74, s[10:11] offset:32
	;; [unrolled: 1-line block ×3, first 2 shown]
	global_load_dwordx4 v[80:83], v74, s[10:11]
	s_waitcnt vmcnt(0) lgkmcnt(13)
	v_mul_f64 v[74:75], v[70:71], v[82:83]
	v_fma_f64 v[74:75], v[68:69], v[80:81], -v[74:75]
	buffer_store_dword v80, off, s[28:31], 0 offset:1480 ; 4-byte Folded Spill
	buffer_store_dword v81, off, s[28:31], 0 offset:1484 ; 4-byte Folded Spill
	;; [unrolled: 1-line block ×8, first 2 shown]
	v_mul_f64 v[68:69], v[68:69], v[82:83]
	v_fma_f64 v[80:81], v[70:71], v[80:81], v[68:69]
	s_waitcnt lgkmcnt(12)
	v_mul_f64 v[68:69], v[66:67], v[103:104]
	v_fma_f64 v[86:87], v[64:65], v[101:102], -v[68:69]
	v_mul_f64 v[64:65], v[64:65], v[103:104]
	v_fma_f64 v[82:83], v[66:67], v[101:102], v[64:65]
	v_mov_b32_e32 v66, v97
	v_mov_b32_e32 v67, v98
	v_mov_b32_e32 v68, v99
	v_mov_b32_e32 v69, v100
	buffer_store_dword v66, off, s[28:31], 0 offset:1512 ; 4-byte Folded Spill
	buffer_store_dword v67, off, s[28:31], 0 offset:1516 ; 4-byte Folded Spill
	;; [unrolled: 1-line block ×8, first 2 shown]
	s_waitcnt lgkmcnt(11)
	v_mul_f64 v[64:65], v[62:63], v[68:69]
	v_fma_f64 v[100:101], v[60:61], v[66:67], -v[64:65]
	v_mul_f64 v[60:61], v[60:61], v[68:69]
	v_fma_f64 v[90:91], v[62:63], v[66:67], v[60:61]
	s_waitcnt lgkmcnt(10)
	v_mul_f64 v[60:61], v[58:59], v[95:96]
	v_fma_f64 v[108:109], v[56:57], v[93:94], -v[60:61]
	v_mul_f64 v[56:57], v[56:57], v[95:96]
	v_fma_f64 v[96:97], v[58:59], v[93:94], v[56:57]
	v_mul_u32_u24_sdwa v56, v171, v92 dst_sel:DWORD dst_unused:UNUSED_PAD src0_sel:WORD_0 src1_sel:DWORD
	v_lshrrev_b32_e32 v214, 17, v56
	v_mul_lo_u16 v56, v214, 3
	v_sub_nc_u16 v215, v171, v56
	v_lshlrev_b16 v56, 2, v215
	v_lshlrev_b32_sdwa v56, v193, v56 dst_sel:DWORD dst_unused:UNUSED_PAD src0_sel:DWORD src1_sel:WORD_0
	s_clause 0x3
	global_load_dwordx4 v[58:61], v56, s[10:11] offset:48
	global_load_dwordx4 v[62:65], v56, s[10:11] offset:32
	global_load_dwordx4 v[204:207], v56, s[10:11] offset:16
	global_load_dwordx4 v[200:203], v56, s[10:11]
	s_waitcnt vmcnt(2)
	buffer_store_dword v62, off, s[28:31], 0 offset:1740 ; 4-byte Folded Spill
	buffer_store_dword v63, off, s[28:31], 0 offset:1744 ; 4-byte Folded Spill
	;; [unrolled: 1-line block ×8, first 2 shown]
	s_waitcnt vmcnt(0) lgkmcnt(8)
	v_mul_f64 v[56:57], v[54:55], v[202:203]
	v_fma_f64 v[98:99], v[52:53], v[200:201], -v[56:57]
	v_mul_f64 v[52:53], v[52:53], v[202:203]
	v_add_f64 v[56:57], v[144:145], -v[164:165]
	v_fma_f64 v[110:111], v[54:55], v[200:201], v[52:53]
	s_waitcnt lgkmcnt(7)
	v_mul_f64 v[52:53], v[50:51], v[206:207]
	v_add_f64 v[54:55], v[142:143], -v[138:139]
	v_fma_f64 v[102:103], v[48:49], v[204:205], -v[52:53]
	v_mul_f64 v[48:49], v[48:49], v[206:207]
	v_add_f64 v[52:53], v[172:173], -v[158:159]
	v_fma_f64 v[166:167], v[50:51], v[204:205], v[48:49]
	v_add_f64 v[50:51], v[154:155], -v[156:157]
	v_add_f64 v[50:51], v[50:51], v[52:53]
	v_add_f64 v[52:53], v[128:129], -v[140:141]
	v_add_f64 v[52:53], v[52:53], v[54:55]
	v_add_f64 v[54:55], v[88:89], -v[78:79]
	s_waitcnt lgkmcnt(6)
	v_mul_f64 v[48:49], v[46:47], v[64:65]
	v_fma_f64 v[126:127], v[44:45], v[62:63], -v[48:49]
	v_mul_f64 v[44:45], v[44:45], v[64:65]
	v_add_f64 v[48:49], v[140:141], -v[138:139]
	v_fma_f64 v[122:123], v[46:47], v[62:63], v[44:45]
	s_waitcnt lgkmcnt(5)
	v_mul_f64 v[44:45], v[42:43], v[60:61]
	v_add_f64 v[46:47], v[146:147], -v[148:149]
	v_fma_f64 v[136:137], v[40:41], v[58:59], -v[44:45]
	v_mul_f64 v[40:41], v[40:41], v[60:61]
	v_add_f64 v[44:45], v[148:149], -v[146:147]
	v_fma_f64 v[124:125], v[42:43], v[58:59], v[40:41]
	v_mul_u32_u24_sdwa v40, v192, v92 dst_sel:DWORD dst_unused:UNUSED_PAD src0_sel:WORD_0 src1_sel:DWORD
	v_add_f64 v[42:43], v[162:163], -v[174:175]
	v_add_f64 v[58:59], v[164:165], -v[144:145]
	v_lshrrev_b32_e32 v216, 17, v40
	v_mul_lo_u16 v40, v216, 3
	v_sub_nc_u16 v217, v192, v40
	v_lshlrev_b16 v40, 2, v217
	v_lshlrev_b32_sdwa v40, v193, v40 dst_sel:DWORD dst_unused:UNUSED_PAD src0_sel:DWORD src1_sel:WORD_0
	s_clause 0x3
	global_load_dwordx4 v[196:199], v40, s[10:11] offset:48
	global_load_dwordx4 v[188:191], v40, s[10:11] offset:32
	;; [unrolled: 1-line block ×3, first 2 shown]
	global_load_dwordx4 v[176:179], v40, s[10:11]
	s_waitcnt vmcnt(0) lgkmcnt(0)
	s_waitcnt_vscnt null, 0x0
	s_barrier
	buffer_gl0_inv
	v_mul_f64 v[40:41], v[34:35], v[178:179]
	v_fma_f64 v[112:113], v[32:33], v[176:177], -v[40:41]
	v_mul_f64 v[32:33], v[32:33], v[178:179]
	v_add_f64 v[40:41], v[160:161], -v[184:185]
	v_fma_f64 v[92:93], v[34:35], v[176:177], v[32:33]
	v_mul_f64 v[32:33], v[26:27], v[182:183]
	v_add_f64 v[34:35], v[174:175], -v[184:185]
	v_fma_f64 v[114:115], v[24:25], v[180:181], -v[32:33]
	v_mul_f64 v[24:25], v[24:25], v[182:183]
	v_add_f64 v[32:33], v[184:185], -v[174:175]
	v_fma_f64 v[94:95], v[26:27], v[180:181], v[24:25]
	v_mul_f64 v[24:25], v[22:23], v[190:191]
	v_add_f64 v[26:27], v[152:153], -v[146:147]
	;; [unrolled: 6-line block ×3, first 2 shown]
	v_add_f64 v[32:33], v[24:25], v[32:33]
	v_fma_f64 v[118:119], v[16:17], v[196:197], -v[20:21]
	v_mul_f64 v[16:17], v[16:17], v[198:199]
	v_fma_f64 v[106:107], v[18:19], v[196:197], v[16:17]
	v_add_f64 v[18:19], v[162:163], v[174:175]
	v_add_f64 v[16:17], v[28:29], v[160:161]
	v_fma_f64 v[18:19], v[18:19], -0.5, v[28:29]
	v_add_f64 v[16:17], v[16:17], v[162:163]
	v_fma_f64 v[20:21], v[22:23], s[2:3], v[18:19]
	v_fma_f64 v[18:19], v[22:23], s[14:15], v[18:19]
	v_add_f64 v[16:17], v[16:17], v[174:175]
	v_fma_f64 v[20:21], v[26:27], s[8:9], v[20:21]
	v_fma_f64 v[18:19], v[26:27], s[6:7], v[18:19]
	;; [unrolled: 3-line block ×3, first 2 shown]
	v_add_f64 v[18:19], v[160:161], v[184:185]
	v_add_f64 v[32:33], v[162:163], -v[160:161]
	v_fma_f64 v[18:19], v[18:19], -0.5, v[28:29]
	v_add_f64 v[34:35], v[32:33], v[34:35]
	v_fma_f64 v[28:29], v[26:27], s[14:15], v[18:19]
	v_fma_f64 v[18:19], v[26:27], s[2:3], v[18:19]
	;; [unrolled: 1-line block ×4, first 2 shown]
	v_add_f64 v[22:23], v[152:153], v[146:147]
	v_fma_f64 v[32:33], v[34:35], s[4:5], v[28:29]
	v_fma_f64 v[28:29], v[34:35], s[4:5], v[18:19]
	v_fma_f64 v[22:23], v[22:23], -0.5, v[30:31]
	v_add_f64 v[34:35], v[150:151], -v[152:153]
	v_add_f64 v[18:19], v[30:31], v[150:151]
	v_fma_f64 v[26:27], v[40:41], s[14:15], v[22:23]
	v_fma_f64 v[22:23], v[40:41], s[2:3], v[22:23]
	v_add_f64 v[34:35], v[34:35], v[44:45]
	v_add_f64 v[44:45], v[152:153], -v[150:151]
	v_add_f64 v[18:19], v[18:19], v[152:153]
	v_fma_f64 v[26:27], v[42:43], s[6:7], v[26:27]
	v_fma_f64 v[22:23], v[42:43], s[8:9], v[22:23]
	v_add_f64 v[44:45], v[44:45], v[46:47]
	v_add_f64 v[18:19], v[18:19], v[146:147]
	v_fma_f64 v[26:27], v[34:35], s[4:5], v[26:27]
	v_fma_f64 v[22:23], v[34:35], s[4:5], v[22:23]
	v_add_f64 v[34:35], v[150:151], v[148:149]
	v_add_f64 v[18:19], v[18:19], v[148:149]
	v_fma_f64 v[30:31], v[34:35], -0.5, v[30:31]
	v_fma_f64 v[34:35], v[42:43], s[2:3], v[30:31]
	v_fma_f64 v[30:31], v[42:43], s[14:15], v[30:31]
	v_add_f64 v[42:43], v[156:157], v[158:159]
	v_fma_f64 v[34:35], v[40:41], s[6:7], v[34:35]
	v_fma_f64 v[30:31], v[40:41], s[8:9], v[30:31]
	v_fma_f64 v[42:43], v[42:43], -0.5, v[36:37]
	v_add_f64 v[40:41], v[36:37], v[154:155]
	v_fma_f64 v[34:35], v[44:45], s[4:5], v[34:35]
	v_fma_f64 v[30:31], v[44:45], s[4:5], v[30:31]
	v_add_f64 v[44:45], v[128:129], -v[142:143]
	v_add_f64 v[40:41], v[40:41], v[156:157]
	v_fma_f64 v[46:47], v[44:45], s[2:3], v[42:43]
	v_fma_f64 v[42:43], v[44:45], s[14:15], v[42:43]
	v_add_f64 v[40:41], v[40:41], v[158:159]
	v_fma_f64 v[46:47], v[48:49], s[8:9], v[46:47]
	v_fma_f64 v[42:43], v[48:49], s[6:7], v[42:43]
	;; [unrolled: 3-line block ×3, first 2 shown]
	v_add_f64 v[42:43], v[154:155], v[172:173]
	v_add_f64 v[46:47], v[156:157], -v[154:155]
	v_add_f64 v[50:51], v[158:159], -v[172:173]
	v_fma_f64 v[36:37], v[42:43], -0.5, v[36:37]
	v_add_f64 v[46:47], v[46:47], v[50:51]
	v_add_f64 v[50:51], v[156:157], -v[158:159]
	v_fma_f64 v[42:43], v[48:49], s[14:15], v[36:37]
	v_fma_f64 v[36:37], v[48:49], s[2:3], v[36:37]
	;; [unrolled: 1-line block ×4, first 2 shown]
	v_add_f64 v[44:45], v[140:141], v[138:139]
	v_fma_f64 v[68:69], v[46:47], s[4:5], v[42:43]
	v_fma_f64 v[36:37], v[46:47], s[4:5], v[36:37]
	v_fma_f64 v[44:45], v[44:45], -0.5, v[38:39]
	v_add_f64 v[46:47], v[154:155], -v[172:173]
	v_add_f64 v[42:43], v[38:39], v[128:129]
	v_fma_f64 v[48:49], v[46:47], s[14:15], v[44:45]
	v_fma_f64 v[44:45], v[46:47], s[2:3], v[44:45]
	v_add_f64 v[42:43], v[42:43], v[140:141]
	v_fma_f64 v[48:49], v[50:51], s[6:7], v[48:49]
	v_fma_f64 v[44:45], v[50:51], s[8:9], v[44:45]
	;; [unrolled: 3-line block ×3, first 2 shown]
	v_add_f64 v[44:45], v[128:129], v[142:143]
	v_add_f64 v[48:49], v[140:141], -v[128:129]
	v_add_f64 v[52:53], v[138:139], -v[142:143]
	;; [unrolled: 1-line block ×4, first 2 shown]
	v_add_f64 v[42:43], v[42:43], v[142:143]
	v_fma_f64 v[38:39], v[44:45], -0.5, v[38:39]
	v_add_f64 v[48:49], v[48:49], v[52:53]
	v_add_f64 v[52:53], v[130:131], -v[132:133]
	v_fma_f64 v[44:45], v[50:51], s[2:3], v[38:39]
	v_fma_f64 v[38:39], v[50:51], s[14:15], v[38:39]
	v_add_f64 v[50:51], v[84:85], -v[72:73]
	v_add_f64 v[56:57], v[52:53], v[56:57]
	v_fma_f64 v[44:45], v[46:47], s[6:7], v[44:45]
	v_fma_f64 v[38:39], v[46:47], s[8:9], v[38:39]
	v_add_f64 v[46:47], v[132:133], v[164:165]
	v_fma_f64 v[70:71], v[48:49], s[4:5], v[44:45]
	v_fma_f64 v[38:39], v[48:49], s[4:5], v[38:39]
	v_fma_f64 v[46:47], v[46:47], -0.5, v[12:13]
	v_add_f64 v[44:45], v[12:13], v[130:131]
	v_fma_f64 v[48:49], v[50:51], s[2:3], v[46:47]
	v_fma_f64 v[46:47], v[50:51], s[14:15], v[46:47]
	v_add_f64 v[44:45], v[44:45], v[132:133]
	v_fma_f64 v[48:49], v[54:55], s[8:9], v[48:49]
	v_fma_f64 v[46:47], v[54:55], s[6:7], v[46:47]
	;; [unrolled: 3-line block ×3, first 2 shown]
	v_add_f64 v[46:47], v[130:131], v[144:145]
	v_add_f64 v[56:57], v[132:133], -v[130:131]
	v_add_f64 v[44:45], v[44:45], v[144:145]
	v_fma_f64 v[12:13], v[46:47], -0.5, v[12:13]
	v_add_f64 v[56:57], v[56:57], v[58:59]
	v_add_f64 v[58:59], v[132:133], -v[164:165]
	v_add_f64 v[132:133], v[100:101], -v[108:109]
	v_fma_f64 v[46:47], v[54:55], s[14:15], v[12:13]
	v_fma_f64 v[12:13], v[54:55], s[2:3], v[12:13]
	;; [unrolled: 1-line block ×4, first 2 shown]
	v_add_f64 v[50:51], v[88:89], v[78:79]
	v_fma_f64 v[76:77], v[56:57], s[4:5], v[46:47]
	v_fma_f64 v[12:13], v[56:57], s[4:5], v[12:13]
	v_fma_f64 v[50:51], v[50:51], -0.5, v[14:15]
	v_add_f64 v[56:57], v[130:131], -v[144:145]
	v_add_f64 v[130:131], v[72:73], -v[78:79]
	v_add_f64 v[46:47], v[14:15], v[84:85]
	v_fma_f64 v[54:55], v[56:57], s[14:15], v[50:51]
	v_fma_f64 v[50:51], v[56:57], s[2:3], v[50:51]
	v_add_f64 v[128:129], v[128:129], v[130:131]
	v_add_f64 v[46:47], v[46:47], v[88:89]
	v_add_f64 v[130:131], v[82:83], -v[90:91]
	v_fma_f64 v[54:55], v[58:59], s[6:7], v[54:55]
	v_fma_f64 v[50:51], v[58:59], s[8:9], v[50:51]
	v_add_f64 v[46:47], v[46:47], v[78:79]
	v_fma_f64 v[54:55], v[128:129], s[4:5], v[54:55]
	v_fma_f64 v[50:51], v[128:129], s[4:5], v[50:51]
	v_add_f64 v[128:129], v[84:85], v[72:73]
	v_add_f64 v[46:47], v[46:47], v[72:73]
	v_add_f64 v[84:85], v[88:89], -v[84:85]
	v_add_f64 v[72:73], v[78:79], -v[72:73]
	;; [unrolled: 1-line block ×3, first 2 shown]
	v_fma_f64 v[14:15], v[128:129], -0.5, v[14:15]
	v_add_f64 v[72:73], v[84:85], v[72:73]
	v_add_f64 v[84:85], v[74:75], -v[86:87]
	v_fma_f64 v[128:129], v[58:59], s[2:3], v[14:15]
	v_fma_f64 v[14:15], v[58:59], s[14:15], v[14:15]
	v_add_f64 v[58:59], v[86:87], v[100:101]
	v_add_f64 v[84:85], v[84:85], v[88:89]
	v_add_f64 v[88:89], v[86:87], -v[74:75]
	v_fma_f64 v[128:129], v[56:57], s[6:7], v[128:129]
	v_fma_f64 v[14:15], v[56:57], s[8:9], v[14:15]
	v_fma_f64 v[58:59], v[58:59], -0.5, v[8:9]
	v_add_f64 v[56:57], v[8:9], v[74:75]
	v_add_f64 v[132:133], v[88:89], v[132:133]
	v_fma_f64 v[78:79], v[72:73], s[4:5], v[128:129]
	v_add_f64 v[128:129], v[80:81], -v[96:97]
	v_fma_f64 v[14:15], v[72:73], s[4:5], v[14:15]
	v_add_f64 v[56:57], v[56:57], v[86:87]
	v_fma_f64 v[72:73], v[128:129], s[2:3], v[58:59]
	v_fma_f64 v[58:59], v[128:129], s[14:15], v[58:59]
	v_add_f64 v[56:57], v[56:57], v[100:101]
	v_add_f64 v[100:101], v[86:87], -v[100:101]
	v_add_f64 v[86:87], v[80:81], -v[82:83]
	v_fma_f64 v[72:73], v[130:131], s[8:9], v[72:73]
	v_fma_f64 v[58:59], v[130:131], s[6:7], v[58:59]
	v_add_f64 v[56:57], v[56:57], v[108:109]
	v_fma_f64 v[72:73], v[84:85], s[4:5], v[72:73]
	v_fma_f64 v[84:85], v[84:85], s[4:5], v[58:59]
	v_add_f64 v[58:59], v[74:75], v[108:109]
	v_add_f64 v[108:109], v[74:75], -v[108:109]
	v_fma_f64 v[8:9], v[58:59], -0.5, v[8:9]
	v_fma_f64 v[58:59], v[130:131], s[14:15], v[8:9]
	v_fma_f64 v[8:9], v[130:131], s[2:3], v[8:9]
	v_add_f64 v[130:131], v[96:97], -v[90:91]
	v_fma_f64 v[58:59], v[128:129], s[8:9], v[58:59]
	v_fma_f64 v[8:9], v[128:129], s[6:7], v[8:9]
	v_add_f64 v[128:129], v[82:83], v[90:91]
	v_add_f64 v[86:87], v[86:87], v[130:131]
	v_add_f64 v[130:131], v[166:167], -v[122:123]
	v_fma_f64 v[88:89], v[132:133], s[4:5], v[58:59]
	v_add_f64 v[58:59], v[10:11], v[80:81]
	v_fma_f64 v[128:129], v[128:129], -0.5, v[10:11]
	v_fma_f64 v[8:9], v[132:133], s[4:5], v[8:9]
	v_add_f64 v[132:133], v[126:127], -v[136:137]
	v_add_f64 v[58:59], v[58:59], v[82:83]
	v_fma_f64 v[74:75], v[108:109], s[14:15], v[128:129]
	v_fma_f64 v[128:129], v[108:109], s[2:3], v[128:129]
	v_add_f64 v[58:59], v[58:59], v[90:91]
	v_fma_f64 v[74:75], v[100:101], s[6:7], v[74:75]
	v_fma_f64 v[128:129], v[100:101], s[8:9], v[128:129]
	;; [unrolled: 3-line block ×3, first 2 shown]
	v_add_f64 v[128:129], v[80:81], v[96:97]
	v_add_f64 v[80:81], v[82:83], -v[80:81]
	v_add_f64 v[82:83], v[90:91], -v[96:97]
	v_fma_f64 v[10:11], v[128:129], -0.5, v[10:11]
	v_add_f64 v[80:81], v[80:81], v[82:83]
	v_add_f64 v[82:83], v[102:103], v[126:127]
	v_fma_f64 v[128:129], v[100:101], s[2:3], v[10:11]
	v_fma_f64 v[10:11], v[100:101], s[14:15], v[10:11]
	v_add_f64 v[100:101], v[98:99], -v[102:103]
	v_fma_f64 v[82:83], v[82:83], -0.5, v[4:5]
	v_fma_f64 v[128:129], v[108:109], s[6:7], v[128:129]
	v_fma_f64 v[10:11], v[108:109], s[8:9], v[10:11]
	v_add_f64 v[108:109], v[136:137], -v[126:127]
	v_fma_f64 v[90:91], v[80:81], s[4:5], v[128:129]
	v_add_f64 v[128:129], v[110:111], -v[124:125]
	v_add_f64 v[108:109], v[100:101], v[108:109]
	v_fma_f64 v[10:11], v[80:81], s[4:5], v[10:11]
	v_add_f64 v[80:81], v[4:5], v[98:99]
	v_fma_f64 v[96:97], v[128:129], s[2:3], v[82:83]
	v_fma_f64 v[82:83], v[128:129], s[14:15], v[82:83]
	v_add_f64 v[80:81], v[80:81], v[102:103]
	v_fma_f64 v[96:97], v[130:131], s[8:9], v[96:97]
	v_fma_f64 v[82:83], v[130:131], s[6:7], v[82:83]
	v_add_f64 v[80:81], v[80:81], v[126:127]
	v_add_f64 v[126:127], v[102:103], -v[126:127]
	v_fma_f64 v[100:101], v[108:109], s[4:5], v[96:97]
	v_fma_f64 v[96:97], v[108:109], s[4:5], v[82:83]
	v_add_f64 v[82:83], v[98:99], v[136:137]
	v_add_f64 v[108:109], v[102:103], -v[98:99]
	v_add_f64 v[102:103], v[110:111], -v[166:167]
	v_add_f64 v[80:81], v[80:81], v[136:137]
	v_fma_f64 v[4:5], v[82:83], -0.5, v[4:5]
	v_add_f64 v[132:133], v[108:109], v[132:133]
	v_fma_f64 v[82:83], v[130:131], s[14:15], v[4:5]
	v_fma_f64 v[4:5], v[130:131], s[2:3], v[4:5]
	v_add_f64 v[130:131], v[98:99], -v[136:137]
	v_add_f64 v[136:137], v[118:119], -v[116:117]
	v_fma_f64 v[82:83], v[128:129], s[8:9], v[82:83]
	v_fma_f64 v[4:5], v[128:129], s[6:7], v[4:5]
	v_add_f64 v[128:129], v[166:167], v[122:123]
	v_fma_f64 v[108:109], v[132:133], s[4:5], v[82:83]
	v_fma_f64 v[4:5], v[132:133], s[4:5], v[4:5]
	v_fma_f64 v[128:129], v[128:129], -0.5, v[6:7]
	v_add_f64 v[132:133], v[124:125], -v[122:123]
	v_add_f64 v[82:83], v[6:7], v[110:111]
	v_fma_f64 v[98:99], v[130:131], s[14:15], v[128:129]
	v_add_f64 v[132:133], v[102:103], v[132:133]
	v_add_f64 v[82:83], v[82:83], v[166:167]
	v_fma_f64 v[98:99], v[126:127], s[6:7], v[98:99]
	v_add_f64 v[82:83], v[82:83], v[122:123]
	v_add_f64 v[122:123], v[122:123], -v[124:125]
	v_fma_f64 v[102:103], v[132:133], s[4:5], v[98:99]
	v_fma_f64 v[98:99], v[130:131], s[2:3], v[128:129]
	v_add_f64 v[128:129], v[110:111], v[124:125]
	v_add_f64 v[110:111], v[166:167], -v[110:111]
	v_add_f64 v[82:83], v[82:83], v[124:125]
	v_add_f64 v[124:125], v[114:115], v[116:117]
	v_fma_f64 v[98:99], v[126:127], s[8:9], v[98:99]
	v_fma_f64 v[6:7], v[128:129], -0.5, v[6:7]
	v_add_f64 v[122:123], v[110:111], v[122:123]
	v_fma_f64 v[124:125], v[124:125], -0.5, v[0:1]
	v_fma_f64 v[98:99], v[132:133], s[4:5], v[98:99]
	v_fma_f64 v[128:129], v[126:127], s[2:3], v[6:7]
	;; [unrolled: 1-line block ×3, first 2 shown]
	v_add_f64 v[132:133], v[94:95], -v[104:105]
	v_fma_f64 v[128:129], v[130:131], s[6:7], v[128:129]
	v_fma_f64 v[6:7], v[130:131], s[8:9], v[6:7]
	v_add_f64 v[130:131], v[112:113], -v[114:115]
	v_fma_f64 v[110:111], v[122:123], s[4:5], v[128:129]
	v_add_f64 v[128:129], v[92:93], -v[106:107]
	v_add_f64 v[130:131], v[130:131], v[136:137]
	v_fma_f64 v[6:7], v[122:123], s[4:5], v[6:7]
	v_add_f64 v[122:123], v[0:1], v[112:113]
	v_add_f64 v[136:137], v[114:115], -v[112:113]
	v_fma_f64 v[126:127], v[128:129], s[2:3], v[124:125]
	v_fma_f64 v[124:125], v[128:129], s[14:15], v[124:125]
	v_add_f64 v[122:123], v[122:123], v[114:115]
	v_add_f64 v[114:115], v[114:115], -v[116:117]
	v_add_f64 v[136:137], v[136:137], v[138:139]
	v_fma_f64 v[126:127], v[132:133], s[8:9], v[126:127]
	v_fma_f64 v[124:125], v[132:133], s[6:7], v[124:125]
	v_add_f64 v[122:123], v[122:123], v[116:117]
	v_fma_f64 v[126:127], v[130:131], s[4:5], v[126:127]
	v_fma_f64 v[130:131], v[130:131], s[4:5], v[124:125]
	v_add_f64 v[124:125], v[112:113], v[118:119]
	v_add_f64 v[112:113], v[112:113], -v[118:119]
	v_add_f64 v[122:123], v[122:123], v[118:119]
	v_fma_f64 v[124:125], v[124:125], -0.5, v[0:1]
	v_fma_f64 v[0:1], v[132:133], s[14:15], v[124:125]
	v_fma_f64 v[124:125], v[132:133], s[2:3], v[124:125]
	v_fma_f64 v[0:1], v[128:129], s[8:9], v[0:1]
	v_fma_f64 v[124:125], v[128:129], s[6:7], v[124:125]
	v_add_f64 v[128:129], v[94:95], v[104:105]
	v_fma_f64 v[0:1], v[136:137], s[4:5], v[0:1]
	v_fma_f64 v[136:137], v[136:137], s[4:5], v[124:125]
	v_fma_f64 v[132:133], v[128:129], -0.5, v[2:3]
	v_add_f64 v[128:129], v[106:107], -v[104:105]
	v_add_f64 v[124:125], v[2:3], v[92:93]
	v_fma_f64 v[118:119], v[112:113], s[14:15], v[132:133]
	v_add_f64 v[124:125], v[124:125], v[94:95]
	v_fma_f64 v[116:117], v[114:115], s[6:7], v[118:119]
	v_add_f64 v[118:119], v[92:93], -v[94:95]
	v_add_f64 v[124:125], v[124:125], v[104:105]
	v_add_f64 v[118:119], v[118:119], v[128:129]
	;; [unrolled: 1-line block ×3, first 2 shown]
	v_fma_f64 v[128:129], v[118:119], s[4:5], v[116:117]
	v_fma_f64 v[116:117], v[112:113], s[2:3], v[132:133]
	;; [unrolled: 1-line block ×4, first 2 shown]
	v_add_f64 v[116:117], v[92:93], v[106:107]
	v_add_f64 v[92:93], v[94:95], -v[92:93]
	v_add_f64 v[94:95], v[104:105], -v[106:107]
	v_fma_f64 v[116:117], v[116:117], -0.5, v[2:3]
	v_add_f64 v[92:93], v[92:93], v[94:95]
	v_fma_f64 v[2:3], v[114:115], s[2:3], v[116:117]
	v_fma_f64 v[94:95], v[114:115], s[14:15], v[116:117]
	;; [unrolled: 1-line block ×6, first 2 shown]
	v_mov_b32_e32 v92, 15
	v_mul_u32_u24_sdwa v93, v187, v92 dst_sel:DWORD dst_unused:UNUSED_PAD src0_sel:WORD_0 src1_sel:DWORD
	v_add_lshl_u32 v93, v93, v195, 4
	buffer_store_dword v93, off, s[28:31], 0 offset:1836 ; 4-byte Folded Spill
	ds_write_b128 v93, v[16:19]
	ds_write_b128 v93, v[24:27] offset:48
	ds_write_b128 v93, v[32:35] offset:96
	;; [unrolled: 1-line block ×4, first 2 shown]
	v_mul_u32_u24_sdwa v16, v208, v92 dst_sel:DWORD dst_unused:UNUSED_PAD src0_sel:WORD_0 src1_sel:DWORD
	v_add_lshl_u32 v16, v16, v209, 4
	buffer_store_dword v16, off, s[28:31], 0 offset:1832 ; 4-byte Folded Spill
	ds_write_b128 v16, v[40:43]
	ds_write_b128 v16, v[64:67] offset:48
	ds_write_b128 v16, v[68:71] offset:96
	;; [unrolled: 1-line block ×4, first 2 shown]
	v_mad_u16 v16, v210, 15, v211
	v_mul_lo_u16 v40, 0x89, v186
	v_lshlrev_b32_sdwa v16, v193, v16 dst_sel:DWORD dst_unused:UNUSED_PAD src0_sel:DWORD src1_sel:WORD_0
	v_lshrrev_b16 v195, 11, v40
	buffer_store_dword v16, off, s[28:31], 0 offset:1824 ; 4-byte Folded Spill
	ds_write_b128 v16, v[44:47]
	ds_write_b128 v16, v[52:55] offset:48
	ds_write_b128 v16, v[76:79] offset:96
	;; [unrolled: 1-line block ×4, first 2 shown]
	v_mad_u16 v12, v212, 15, v213
	v_mul_lo_u16 v40, v195, 15
	v_lshlrev_b32_sdwa v12, v193, v12 dst_sel:DWORD dst_unused:UNUSED_PAD src0_sel:DWORD src1_sel:WORD_0
	v_sub_nc_u16 v40, v135, v40
	buffer_store_dword v12, off, s[28:31], 0 offset:1672 ; 4-byte Folded Spill
	ds_write_b128 v12, v[56:59]
	ds_write_b128 v12, v[72:75] offset:48
	ds_write_b128 v12, v[88:91] offset:96
	;; [unrolled: 1-line block ×4, first 2 shown]
	v_mad_u16 v8, v214, 15, v215
	v_and_b32_e32 v208, 0xff, v40
	v_lshlrev_b32_sdwa v8, v193, v8 dst_sel:DWORD dst_unused:UNUSED_PAD src0_sel:DWORD src1_sel:WORD_0
	v_lshlrev_b32_e32 v40, 6, v208
	buffer_store_dword v8, off, s[28:31], 0 offset:992 ; 4-byte Folded Spill
	ds_write_b128 v8, v[80:83]
	ds_write_b128 v8, v[100:103] offset:48
	ds_write_b128 v8, v[108:111] offset:96
	;; [unrolled: 1-line block ×4, first 2 shown]
	v_mad_u16 v4, v216, 15, v217
	v_lshlrev_b32_sdwa v4, v193, v4 dst_sel:DWORD dst_unused:UNUSED_PAD src0_sel:DWORD src1_sel:WORD_0
	buffer_store_dword v4, off, s[28:31], 0 offset:664 ; 4-byte Folded Spill
	ds_write_b128 v4, v[122:125]
	ds_write_b128 v4, v[126:129] offset:48
	ds_write_b128 v4, v[0:3] offset:96
	;; [unrolled: 1-line block ×4, first 2 shown]
	s_waitcnt lgkmcnt(0)
	s_waitcnt_vscnt null, 0x0
	s_barrier
	buffer_gl0_inv
	ds_read_b128 v[24:27], v134
	ds_read_b128 v[106:109], v134 offset:12000
	ds_read_b128 v[110:113], v134 offset:24000
	;; [unrolled: 1-line block ×29, first 2 shown]
	s_clause 0x3
	global_load_dwordx4 v[126:129], v40, s[10:11] offset:240
	global_load_dwordx4 v[130:133], v40, s[10:11] offset:224
	;; [unrolled: 1-line block ×4, first 2 shown]
	s_waitcnt vmcnt(0)
	buffer_store_dword v140, off, s[28:31], 0 offset:752 ; 4-byte Folded Spill
	buffer_store_dword v141, off, s[28:31], 0 offset:756 ; 4-byte Folded Spill
	;; [unrolled: 1-line block ×16, first 2 shown]
	s_waitcnt lgkmcnt(28)
	v_mul_f64 v[40:41], v[108:109], v[142:143]
	v_fma_f64 v[172:173], v[106:107], v[140:141], -v[40:41]
	v_mul_f64 v[40:41], v[106:107], v[142:143]
	s_waitcnt lgkmcnt(27)
	v_mul_f64 v[106:107], v[112:113], v[138:139]
	v_fma_f64 v[40:41], v[108:109], v[140:141], v[40:41]
	v_fma_f64 v[174:175], v[110:111], v[136:137], -v[106:107]
	v_mul_f64 v[106:107], v[110:111], v[138:139]
	v_fma_f64 v[160:161], v[112:113], v[136:137], v[106:107]
	s_waitcnt lgkmcnt(26)
	v_mul_f64 v[106:107], v[116:117], v[132:133]
	v_fma_f64 v[184:185], v[114:115], v[130:131], -v[106:107]
	v_mul_f64 v[106:107], v[114:115], v[132:133]
	v_fma_f64 v[158:159], v[116:117], v[130:131], v[106:107]
	s_waitcnt lgkmcnt(25)
	v_mul_f64 v[106:107], v[124:125], v[128:129]
	v_fma_f64 v[186:187], v[122:123], v[126:127], -v[106:107]
	v_mul_f64 v[106:107], v[122:123], v[128:129]
	v_fma_f64 v[162:163], v[124:125], v[126:127], v[106:107]
	v_mul_lo_u16 v106, 0x89, v194
	v_lshrrev_b16 v209, 11, v106
	v_mul_lo_u16 v106, v209, 15
	v_sub_nc_u16 v106, v168, v106
	v_and_b32_e32 v210, 0xff, v106
	v_lshlrev_b32_e32 v106, 6, v210
	s_clause 0x3
	global_load_dwordx4 v[108:111], v106, s[10:11] offset:240
	global_load_dwordx4 v[112:115], v106, s[10:11] offset:224
	;; [unrolled: 1-line block ×4, first 2 shown]
	s_waitcnt vmcnt(0) lgkmcnt(23)
	v_mul_f64 v[106:107], v[104:105], v[124:125]
	v_fma_f64 v[150:151], v[102:103], v[122:123], -v[106:107]
	buffer_store_dword v122, off, s[28:31], 0 offset:880 ; 4-byte Folded Spill
	buffer_store_dword v123, off, s[28:31], 0 offset:884 ; 4-byte Folded Spill
	;; [unrolled: 1-line block ×16, first 2 shown]
	v_mul_f64 v[102:103], v[102:103], v[124:125]
	v_fma_f64 v[140:141], v[104:105], v[122:123], v[102:103]
	s_waitcnt lgkmcnt(22)
	v_mul_f64 v[102:103], v[100:101], v[118:119]
	v_fma_f64 v[152:153], v[98:99], v[116:117], -v[102:103]
	v_mul_f64 v[98:99], v[98:99], v[118:119]
	v_fma_f64 v[144:145], v[100:101], v[116:117], v[98:99]
	s_waitcnt lgkmcnt(21)
	v_mul_f64 v[98:99], v[96:97], v[114:115]
	v_fma_f64 v[154:155], v[94:95], v[112:113], -v[98:99]
	;; [unrolled: 5-line block ×3, first 2 shown]
	v_mul_f64 v[90:91], v[90:91], v[110:111]
	v_fma_f64 v[148:149], v[92:93], v[108:109], v[90:91]
	v_mov_b32_e32 v92, 0x8889
	v_mul_u32_u24_sdwa v90, v169, v92 dst_sel:DWORD dst_unused:UNUSED_PAD src0_sel:WORD_0 src1_sel:DWORD
	v_lshrrev_b32_e32 v211, 19, v90
	v_mul_lo_u16 v90, v211, 15
	v_sub_nc_u16 v212, v169, v90
	v_lshlrev_b16 v90, 6, v212
	v_and_b32_e32 v90, 0xffff, v90
	v_add_co_u32 v90, s20, s10, v90
	v_add_co_ci_u32_e64 v91, null, s11, 0, s20
	s_clause 0x3
	global_load_dwordx4 v[93:96], v[90:91], off offset:240
	global_load_dwordx4 v[97:100], v[90:91], off offset:224
	global_load_dwordx4 v[101:104], v[90:91], off offset:208
	global_load_dwordx4 v[105:108], v[90:91], off offset:192
	s_waitcnt vmcnt(0) lgkmcnt(18)
	v_mul_f64 v[90:91], v[88:89], v[107:108]
	v_fma_f64 v[164:165], v[86:87], v[105:106], -v[90:91]
	buffer_store_dword v105, off, s[28:31], 0 offset:1076 ; 4-byte Folded Spill
	buffer_store_dword v106, off, s[28:31], 0 offset:1080 ; 4-byte Folded Spill
	;; [unrolled: 1-line block ×16, first 2 shown]
	v_mul_f64 v[86:87], v[86:87], v[107:108]
	v_fma_f64 v[88:89], v[88:89], v[105:106], v[86:87]
	s_waitcnt lgkmcnt(17)
	v_mul_f64 v[86:87], v[84:85], v[103:104]
	v_fma_f64 v[136:137], v[82:83], v[101:102], -v[86:87]
	v_mul_f64 v[82:83], v[82:83], v[103:104]
	v_fma_f64 v[84:85], v[84:85], v[101:102], v[82:83]
	s_waitcnt lgkmcnt(16)
	v_mul_f64 v[82:83], v[80:81], v[99:100]
	v_fma_f64 v[138:139], v[78:79], v[97:98], -v[82:83]
	;; [unrolled: 5-line block ×3, first 2 shown]
	v_mul_f64 v[74:75], v[74:75], v[95:96]
	v_fma_f64 v[132:133], v[76:77], v[93:94], v[74:75]
	v_mul_u32_u24_sdwa v74, v170, v92 dst_sel:DWORD dst_unused:UNUSED_PAD src0_sel:WORD_0 src1_sel:DWORD
	v_lshrrev_b32_e32 v213, 19, v74
	v_mul_lo_u16 v74, v213, 15
	v_sub_nc_u16 v214, v170, v74
	v_lshlrev_b16 v74, 6, v214
	v_and_b32_e32 v74, 0xffff, v74
	v_add_co_u32 v74, s20, s10, v74
	v_add_co_ci_u32_e64 v75, null, s11, 0, s20
	s_clause 0x3
	global_load_dwordx4 v[76:79], v[74:75], off offset:240
	global_load_dwordx4 v[93:96], v[74:75], off offset:224
	;; [unrolled: 1-line block ×4, first 2 shown]
	s_waitcnt vmcnt(0) lgkmcnt(13)
	v_mul_f64 v[74:75], v[72:73], v[82:83]
	v_fma_f64 v[74:75], v[70:71], v[80:81], -v[74:75]
	buffer_store_dword v80, off, s[28:31], 0 offset:1240 ; 4-byte Folded Spill
	buffer_store_dword v81, off, s[28:31], 0 offset:1244 ; 4-byte Folded Spill
	;; [unrolled: 1-line block ×16, first 2 shown]
	v_mul_f64 v[70:71], v[70:71], v[82:83]
	v_fma_f64 v[80:81], v[72:73], v[80:81], v[70:71]
	s_waitcnt lgkmcnt(12)
	v_mul_f64 v[70:71], v[68:69], v[99:100]
	v_add_f64 v[72:73], v[132:133], -v[130:131]
	v_fma_f64 v[86:87], v[66:67], v[97:98], -v[70:71]
	v_mul_f64 v[66:67], v[66:67], v[99:100]
	v_fma_f64 v[82:83], v[68:69], v[97:98], v[66:67]
	s_waitcnt lgkmcnt(11)
	v_mul_f64 v[66:67], v[64:65], v[95:96]
	v_fma_f64 v[100:101], v[62:63], v[93:94], -v[66:67]
	v_mul_f64 v[62:63], v[62:63], v[95:96]
	v_fma_f64 v[90:91], v[64:65], v[93:94], v[62:63]
	s_waitcnt lgkmcnt(10)
	v_mul_f64 v[62:63], v[60:61], v[78:79]
	v_fma_f64 v[108:109], v[58:59], v[76:77], -v[62:63]
	v_mul_f64 v[58:59], v[58:59], v[78:79]
	v_fma_f64 v[96:97], v[60:61], v[76:77], v[58:59]
	v_mul_u32_u24_sdwa v58, v171, v92 dst_sel:DWORD dst_unused:UNUSED_PAD src0_sel:WORD_0 src1_sel:DWORD
	v_lshrrev_b32_e32 v215, 19, v58
	v_mul_lo_u16 v58, v215, 15
	v_sub_nc_u16 v216, v171, v58
	v_lshlrev_b16 v58, 6, v216
	v_and_b32_e32 v58, 0xffff, v58
	v_add_co_u32 v58, s20, s10, v58
	v_add_co_ci_u32_e64 v59, null, s11, 0, s20
	s_clause 0x3
	global_load_dwordx4 v[60:63], v[58:59], off offset:240
	global_load_dwordx4 v[64:67], v[58:59], off offset:224
	global_load_dwordx4 v[68:71], v[58:59], off offset:208
	global_load_dwordx4 v[76:79], v[58:59], off offset:192
	s_waitcnt vmcnt(0) lgkmcnt(8)
	v_mul_f64 v[58:59], v[56:57], v[78:79]
	v_fma_f64 v[98:99], v[54:55], v[76:77], -v[58:59]
	buffer_store_dword v76, off, s[28:31], 0 offset:1528 ; 4-byte Folded Spill
	buffer_store_dword v77, off, s[28:31], 0 offset:1532 ; 4-byte Folded Spill
	;; [unrolled: 1-line block ×16, first 2 shown]
	v_add_f64 v[58:59], v[138:139], -v[142:143]
	v_mul_f64 v[54:55], v[54:55], v[78:79]
	v_fma_f64 v[110:111], v[56:57], v[76:77], v[54:55]
	s_waitcnt lgkmcnt(7)
	v_mul_f64 v[54:55], v[52:53], v[70:71]
	v_add_f64 v[56:57], v[142:143], -v[138:139]
	v_fma_f64 v[102:103], v[50:51], v[68:69], -v[54:55]
	v_mul_f64 v[50:51], v[50:51], v[70:71]
	v_add_f64 v[54:55], v[148:149], -v[146:147]
	v_fma_f64 v[166:167], v[52:53], v[68:69], v[50:51]
	s_waitcnt lgkmcnt(6)
	v_mul_f64 v[50:51], v[48:49], v[66:67]
	v_fma_f64 v[126:127], v[46:47], v[64:65], -v[50:51]
	v_mul_f64 v[46:47], v[46:47], v[66:67]
	v_fma_f64 v[122:123], v[48:49], v[64:65], v[46:47]
	s_waitcnt lgkmcnt(5)
	v_mul_f64 v[46:47], v[38:39], v[62:63]
	v_fma_f64 v[128:129], v[36:37], v[60:61], -v[46:47]
	v_mul_f64 v[36:37], v[36:37], v[62:63]
	v_add_f64 v[62:63], v[88:89], -v[84:85]
	v_fma_f64 v[124:125], v[38:39], v[60:61], v[36:37]
	v_mul_u32_u24_sdwa v36, v192, v92 dst_sel:DWORD dst_unused:UNUSED_PAD src0_sel:WORD_0 src1_sel:DWORD
	v_add_f64 v[38:39], v[174:175], -v[184:185]
	v_add_f64 v[62:63], v[62:63], v[72:73]
	v_add_f64 v[72:73], v[84:85], -v[88:89]
	v_lshrrev_b32_e32 v217, 19, v36
	v_mul_lo_u16 v36, v217, 15
	v_sub_nc_u16 v218, v192, v36
	v_lshlrev_b16 v36, 6, v218
	v_and_b32_e32 v36, 0xffff, v36
	v_add_co_u32 v36, s20, s10, v36
	v_add_co_ci_u32_e64 v37, null, s11, 0, s20
	s_clause 0x3
	global_load_dwordx4 v[46:49], v[36:37], off offset:240
	global_load_dwordx4 v[50:53], v[36:37], off offset:224
	;; [unrolled: 1-line block ×4, first 2 shown]
	s_waitcnt vmcnt(2)
	buffer_store_dword v50, off, s[28:31], 0 offset:1776 ; 4-byte Folded Spill
	buffer_store_dword v51, off, s[28:31], 0 offset:1780 ; 4-byte Folded Spill
	;; [unrolled: 1-line block ×8, first 2 shown]
	s_waitcnt vmcnt(0) lgkmcnt(3)
	v_mul_f64 v[36:37], v[30:31], v[234:235]
	s_waitcnt lgkmcnt(0)
	s_waitcnt_vscnt null, 0x0
	s_barrier
	buffer_gl0_inv
	v_fma_f64 v[112:113], v[28:29], v[232:233], -v[36:37]
	v_mul_f64 v[28:29], v[28:29], v[234:235]
	v_add_f64 v[36:37], v[172:173], -v[186:187]
	v_fma_f64 v[92:93], v[30:31], v[232:233], v[28:29]
	v_mul_f64 v[28:29], v[22:23], v[250:251]
	v_add_f64 v[30:31], v[184:185], -v[186:187]
	v_fma_f64 v[114:115], v[20:21], v[248:249], -v[28:29]
	v_mul_f64 v[20:21], v[20:21], v[250:251]
	v_add_f64 v[28:29], v[186:187], -v[184:185]
	v_fma_f64 v[94:95], v[22:23], v[248:249], v[20:21]
	v_add_f64 v[22:23], v[160:161], -v[158:159]
	v_mul_f64 v[20:21], v[18:19], v[52:53]
	v_fma_f64 v[116:117], v[16:17], v[50:51], -v[20:21]
	v_mul_f64 v[16:17], v[16:17], v[52:53]
	v_add_f64 v[20:21], v[172:173], -v[174:175]
	v_add_f64 v[52:53], v[156:157], -v[154:155]
	v_fma_f64 v[104:105], v[18:19], v[50:51], v[16:17]
	v_mul_f64 v[16:17], v[14:15], v[48:49]
	v_add_f64 v[18:19], v[40:41], -v[162:163]
	v_add_f64 v[28:29], v[20:21], v[28:29]
	v_add_f64 v[50:51], v[150:151], -v[152:153]
	v_fma_f64 v[118:119], v[12:13], v[46:47], -v[16:17]
	v_mul_f64 v[12:13], v[12:13], v[48:49]
	v_add_f64 v[48:49], v[144:145], -v[146:147]
	v_add_f64 v[50:51], v[50:51], v[52:53]
	v_add_f64 v[52:53], v[154:155], -v[156:157]
	v_fma_f64 v[106:107], v[14:15], v[46:47], v[12:13]
	v_add_f64 v[14:15], v[174:175], v[184:185]
	v_add_f64 v[12:13], v[24:25], v[172:173]
	v_add_f64 v[46:47], v[162:163], -v[158:159]
	v_fma_f64 v[14:15], v[14:15], -0.5, v[24:25]
	v_add_f64 v[12:13], v[12:13], v[174:175]
	v_fma_f64 v[16:17], v[18:19], s[2:3], v[14:15]
	v_fma_f64 v[14:15], v[18:19], s[14:15], v[14:15]
	v_add_f64 v[12:13], v[12:13], v[184:185]
	v_fma_f64 v[16:17], v[22:23], s[8:9], v[16:17]
	v_fma_f64 v[14:15], v[22:23], s[6:7], v[14:15]
	;; [unrolled: 3-line block ×3, first 2 shown]
	v_add_f64 v[14:15], v[172:173], v[186:187]
	v_add_f64 v[28:29], v[174:175], -v[172:173]
	v_fma_f64 v[14:15], v[14:15], -0.5, v[24:25]
	v_add_f64 v[30:31], v[28:29], v[30:31]
	v_fma_f64 v[24:25], v[22:23], s[14:15], v[14:15]
	v_fma_f64 v[14:15], v[22:23], s[2:3], v[14:15]
	;; [unrolled: 1-line block ×4, first 2 shown]
	v_add_f64 v[18:19], v[160:161], v[158:159]
	v_fma_f64 v[28:29], v[30:31], s[4:5], v[24:25]
	v_fma_f64 v[24:25], v[30:31], s[4:5], v[14:15]
	v_fma_f64 v[18:19], v[18:19], -0.5, v[26:27]
	v_add_f64 v[30:31], v[40:41], -v[160:161]
	v_add_f64 v[14:15], v[26:27], v[40:41]
	v_fma_f64 v[22:23], v[36:37], s[14:15], v[18:19]
	v_fma_f64 v[18:19], v[36:37], s[2:3], v[18:19]
	v_add_f64 v[30:31], v[30:31], v[46:47]
	v_add_f64 v[46:47], v[158:159], -v[162:163]
	v_add_f64 v[14:15], v[14:15], v[160:161]
	v_fma_f64 v[22:23], v[38:39], s[6:7], v[22:23]
	v_fma_f64 v[18:19], v[38:39], s[8:9], v[18:19]
	v_add_f64 v[14:15], v[14:15], v[158:159]
	v_fma_f64 v[22:23], v[30:31], s[4:5], v[22:23]
	v_fma_f64 v[18:19], v[30:31], s[4:5], v[18:19]
	v_add_f64 v[30:31], v[40:41], v[162:163]
	v_add_f64 v[40:41], v[160:161], -v[40:41]
	v_add_f64 v[14:15], v[14:15], v[162:163]
	v_fma_f64 v[26:27], v[30:31], -0.5, v[26:27]
	v_add_f64 v[40:41], v[40:41], v[46:47]
	v_add_f64 v[46:47], v[140:141], -v[148:149]
	v_fma_f64 v[30:31], v[38:39], s[2:3], v[26:27]
	v_fma_f64 v[26:27], v[38:39], s[14:15], v[26:27]
	v_add_f64 v[38:39], v[152:153], v[154:155]
	v_fma_f64 v[30:31], v[36:37], s[6:7], v[30:31]
	v_fma_f64 v[26:27], v[36:37], s[8:9], v[26:27]
	v_fma_f64 v[38:39], v[38:39], -0.5, v[42:43]
	v_add_f64 v[36:37], v[42:43], v[150:151]
	v_fma_f64 v[30:31], v[40:41], s[4:5], v[30:31]
	v_fma_f64 v[26:27], v[40:41], s[4:5], v[26:27]
	;; [unrolled: 1-line block ×4, first 2 shown]
	v_add_f64 v[36:37], v[36:37], v[152:153]
	v_fma_f64 v[40:41], v[48:49], s[8:9], v[40:41]
	v_fma_f64 v[38:39], v[48:49], s[6:7], v[38:39]
	v_add_f64 v[36:37], v[36:37], v[154:155]
	v_fma_f64 v[64:65], v[50:51], s[4:5], v[40:41]
	v_fma_f64 v[40:41], v[50:51], s[4:5], v[38:39]
	v_add_f64 v[38:39], v[150:151], v[156:157]
	v_add_f64 v[50:51], v[152:153], -v[150:151]
	v_add_f64 v[36:37], v[36:37], v[156:157]
	v_fma_f64 v[38:39], v[38:39], -0.5, v[42:43]
	v_add_f64 v[50:51], v[50:51], v[52:53]
	v_add_f64 v[52:53], v[140:141], -v[144:145]
	v_fma_f64 v[42:43], v[48:49], s[14:15], v[38:39]
	v_fma_f64 v[38:39], v[48:49], s[2:3], v[38:39]
	v_add_f64 v[52:53], v[52:53], v[54:55]
	v_add_f64 v[54:55], v[146:147], -v[148:149]
	v_fma_f64 v[42:43], v[46:47], s[8:9], v[42:43]
	v_fma_f64 v[38:39], v[46:47], s[6:7], v[38:39]
	v_add_f64 v[46:47], v[150:151], -v[156:157]
	v_fma_f64 v[76:77], v[50:51], s[4:5], v[42:43]
	v_add_f64 v[42:43], v[144:145], v[146:147]
	v_fma_f64 v[68:69], v[50:51], s[4:5], v[38:39]
	v_add_f64 v[50:51], v[152:153], -v[154:155]
	v_add_f64 v[38:39], v[44:45], v[140:141]
	v_fma_f64 v[42:43], v[42:43], -0.5, v[44:45]
	v_add_f64 v[38:39], v[38:39], v[144:145]
	v_fma_f64 v[48:49], v[46:47], s[14:15], v[42:43]
	v_fma_f64 v[42:43], v[46:47], s[2:3], v[42:43]
	v_add_f64 v[38:39], v[38:39], v[146:147]
	v_fma_f64 v[48:49], v[50:51], s[6:7], v[48:49]
	v_fma_f64 v[42:43], v[50:51], s[8:9], v[42:43]
	v_add_f64 v[38:39], v[38:39], v[148:149]
	v_fma_f64 v[66:67], v[52:53], s[4:5], v[48:49]
	v_add_f64 v[48:49], v[140:141], v[148:149]
	v_fma_f64 v[42:43], v[52:53], s[4:5], v[42:43]
	v_add_f64 v[52:53], v[144:145], -v[140:141]
	v_fma_f64 v[44:45], v[48:49], -0.5, v[44:45]
	v_add_f64 v[52:53], v[52:53], v[54:55]
	v_add_f64 v[54:55], v[84:85], -v[130:131]
	v_fma_f64 v[48:49], v[50:51], s[2:3], v[44:45]
	v_fma_f64 v[44:45], v[50:51], s[14:15], v[44:45]
	v_add_f64 v[50:51], v[88:89], -v[132:133]
	v_fma_f64 v[48:49], v[46:47], s[6:7], v[48:49]
	v_fma_f64 v[44:45], v[46:47], s[8:9], v[44:45]
	v_add_f64 v[46:47], v[136:137], v[138:139]
	v_fma_f64 v[78:79], v[52:53], s[4:5], v[48:49]
	v_fma_f64 v[70:71], v[52:53], s[4:5], v[44:45]
	v_fma_f64 v[46:47], v[46:47], -0.5, v[32:33]
	v_add_f64 v[52:53], v[164:165], -v[136:137]
	v_add_f64 v[44:45], v[32:33], v[164:165]
	v_fma_f64 v[48:49], v[50:51], s[2:3], v[46:47]
	v_fma_f64 v[46:47], v[50:51], s[14:15], v[46:47]
	v_add_f64 v[56:57], v[52:53], v[56:57]
	v_add_f64 v[44:45], v[44:45], v[136:137]
	v_fma_f64 v[48:49], v[54:55], s[8:9], v[48:49]
	v_fma_f64 v[46:47], v[54:55], s[6:7], v[46:47]
	v_add_f64 v[44:45], v[44:45], v[138:139]
	v_fma_f64 v[52:53], v[56:57], s[4:5], v[48:49]
	v_fma_f64 v[48:49], v[56:57], s[4:5], v[46:47]
	v_add_f64 v[46:47], v[164:165], v[142:143]
	v_add_f64 v[56:57], v[136:137], -v[164:165]
	v_add_f64 v[44:45], v[44:45], v[142:143]
	v_fma_f64 v[32:33], v[46:47], -0.5, v[32:33]
	v_add_f64 v[56:57], v[56:57], v[58:59]
	v_add_f64 v[58:59], v[136:137], -v[138:139]
	v_add_f64 v[136:137], v[100:101], -v[108:109]
	;; [unrolled: 1-line block ×3, first 2 shown]
	v_fma_f64 v[46:47], v[54:55], s[14:15], v[32:33]
	v_fma_f64 v[32:33], v[54:55], s[2:3], v[32:33]
	;; [unrolled: 1-line block ×4, first 2 shown]
	v_add_f64 v[50:51], v[84:85], v[130:131]
	v_fma_f64 v[60:61], v[56:57], s[4:5], v[46:47]
	v_fma_f64 v[32:33], v[56:57], s[4:5], v[32:33]
	v_fma_f64 v[50:51], v[50:51], -0.5, v[34:35]
	v_add_f64 v[56:57], v[164:165], -v[142:143]
	v_add_f64 v[46:47], v[34:35], v[88:89]
	v_fma_f64 v[54:55], v[56:57], s[14:15], v[50:51]
	v_fma_f64 v[50:51], v[56:57], s[2:3], v[50:51]
	v_add_f64 v[46:47], v[46:47], v[84:85]
	v_add_f64 v[84:85], v[130:131], -v[132:133]
	v_fma_f64 v[54:55], v[58:59], s[6:7], v[54:55]
	v_fma_f64 v[50:51], v[58:59], s[8:9], v[50:51]
	v_add_f64 v[46:47], v[46:47], v[130:131]
	v_add_f64 v[72:73], v[72:73], v[84:85]
	v_add_f64 v[130:131], v[80:81], -v[96:97]
	v_add_f64 v[84:85], v[74:75], -v[86:87]
	v_fma_f64 v[54:55], v[62:63], s[4:5], v[54:55]
	v_fma_f64 v[50:51], v[62:63], s[4:5], v[50:51]
	v_add_f64 v[62:63], v[88:89], v[132:133]
	v_add_f64 v[46:47], v[46:47], v[132:133]
	v_add_f64 v[132:133], v[82:83], -v[90:91]
	v_add_f64 v[88:89], v[108:109], -v[100:101]
	v_fma_f64 v[34:35], v[62:63], -0.5, v[34:35]
	v_add_f64 v[84:85], v[84:85], v[88:89]
	v_add_f64 v[88:89], v[86:87], -v[74:75]
	v_fma_f64 v[62:63], v[58:59], s[2:3], v[34:35]
	v_fma_f64 v[34:35], v[58:59], s[14:15], v[34:35]
	v_add_f64 v[58:59], v[86:87], v[100:101]
	v_add_f64 v[136:137], v[88:89], v[136:137]
	v_fma_f64 v[62:63], v[56:57], s[6:7], v[62:63]
	v_fma_f64 v[34:35], v[56:57], s[8:9], v[34:35]
	v_fma_f64 v[58:59], v[58:59], -0.5, v[8:9]
	v_add_f64 v[56:57], v[8:9], v[74:75]
	v_fma_f64 v[62:63], v[72:73], s[4:5], v[62:63]
	v_fma_f64 v[34:35], v[72:73], s[4:5], v[34:35]
	;; [unrolled: 1-line block ×4, first 2 shown]
	v_add_f64 v[56:57], v[56:57], v[86:87]
	v_fma_f64 v[72:73], v[132:133], s[8:9], v[72:73]
	v_fma_f64 v[58:59], v[132:133], s[6:7], v[58:59]
	v_add_f64 v[56:57], v[56:57], v[100:101]
	v_add_f64 v[100:101], v[86:87], -v[100:101]
	v_add_f64 v[86:87], v[80:81], -v[82:83]
	v_fma_f64 v[72:73], v[84:85], s[4:5], v[72:73]
	v_fma_f64 v[84:85], v[84:85], s[4:5], v[58:59]
	v_add_f64 v[58:59], v[74:75], v[108:109]
	v_add_f64 v[56:57], v[56:57], v[108:109]
	v_add_f64 v[108:109], v[74:75], -v[108:109]
	v_fma_f64 v[8:9], v[58:59], -0.5, v[8:9]
	v_fma_f64 v[58:59], v[132:133], s[14:15], v[8:9]
	v_fma_f64 v[8:9], v[132:133], s[2:3], v[8:9]
	v_add_f64 v[132:133], v[96:97], -v[90:91]
	v_fma_f64 v[58:59], v[130:131], s[8:9], v[58:59]
	v_fma_f64 v[8:9], v[130:131], s[6:7], v[8:9]
	v_add_f64 v[130:131], v[82:83], v[90:91]
	v_add_f64 v[86:87], v[86:87], v[132:133]
	v_add_f64 v[132:133], v[166:167], -v[122:123]
	v_fma_f64 v[88:89], v[136:137], s[4:5], v[58:59]
	v_add_f64 v[58:59], v[10:11], v[80:81]
	v_fma_f64 v[130:131], v[130:131], -0.5, v[10:11]
	v_fma_f64 v[8:9], v[136:137], s[4:5], v[8:9]
	v_add_f64 v[136:137], v[126:127], -v[128:129]
	v_add_f64 v[58:59], v[58:59], v[82:83]
	v_fma_f64 v[74:75], v[108:109], s[14:15], v[130:131]
	v_fma_f64 v[130:131], v[108:109], s[2:3], v[130:131]
	v_add_f64 v[58:59], v[58:59], v[90:91]
	v_fma_f64 v[74:75], v[100:101], s[6:7], v[74:75]
	v_fma_f64 v[130:131], v[100:101], s[8:9], v[130:131]
	v_add_f64 v[58:59], v[58:59], v[96:97]
	v_fma_f64 v[74:75], v[86:87], s[4:5], v[74:75]
	v_fma_f64 v[86:87], v[86:87], s[4:5], v[130:131]
	v_add_f64 v[130:131], v[80:81], v[96:97]
	v_add_f64 v[80:81], v[82:83], -v[80:81]
	v_add_f64 v[82:83], v[90:91], -v[96:97]
	v_fma_f64 v[10:11], v[130:131], -0.5, v[10:11]
	v_add_f64 v[80:81], v[80:81], v[82:83]
	v_add_f64 v[82:83], v[102:103], v[126:127]
	v_fma_f64 v[130:131], v[100:101], s[2:3], v[10:11]
	v_fma_f64 v[10:11], v[100:101], s[14:15], v[10:11]
	v_add_f64 v[100:101], v[98:99], -v[102:103]
	v_fma_f64 v[82:83], v[82:83], -0.5, v[4:5]
	v_fma_f64 v[130:131], v[108:109], s[6:7], v[130:131]
	v_fma_f64 v[10:11], v[108:109], s[8:9], v[10:11]
	v_add_f64 v[108:109], v[128:129], -v[126:127]
	v_fma_f64 v[90:91], v[80:81], s[4:5], v[130:131]
	v_add_f64 v[130:131], v[110:111], -v[124:125]
	v_add_f64 v[108:109], v[100:101], v[108:109]
	v_fma_f64 v[10:11], v[80:81], s[4:5], v[10:11]
	v_add_f64 v[80:81], v[4:5], v[98:99]
	v_fma_f64 v[96:97], v[130:131], s[2:3], v[82:83]
	v_fma_f64 v[82:83], v[130:131], s[14:15], v[82:83]
	v_add_f64 v[80:81], v[80:81], v[102:103]
	v_fma_f64 v[96:97], v[132:133], s[8:9], v[96:97]
	v_fma_f64 v[82:83], v[132:133], s[6:7], v[82:83]
	v_add_f64 v[80:81], v[80:81], v[126:127]
	v_add_f64 v[126:127], v[102:103], -v[126:127]
	v_fma_f64 v[100:101], v[108:109], s[4:5], v[96:97]
	v_fma_f64 v[96:97], v[108:109], s[4:5], v[82:83]
	v_add_f64 v[82:83], v[98:99], v[128:129]
	v_add_f64 v[80:81], v[80:81], v[128:129]
	v_add_f64 v[108:109], v[102:103], -v[98:99]
	v_add_f64 v[128:129], v[98:99], -v[128:129]
	;; [unrolled: 1-line block ×3, first 2 shown]
	v_fma_f64 v[4:5], v[82:83], -0.5, v[4:5]
	v_add_f64 v[136:137], v[108:109], v[136:137]
	v_fma_f64 v[82:83], v[132:133], s[14:15], v[4:5]
	v_fma_f64 v[4:5], v[132:133], s[2:3], v[4:5]
	v_add_f64 v[132:133], v[124:125], -v[122:123]
	v_fma_f64 v[82:83], v[130:131], s[8:9], v[82:83]
	v_fma_f64 v[4:5], v[130:131], s[6:7], v[4:5]
	v_add_f64 v[130:131], v[166:167], v[122:123]
	v_add_f64 v[132:133], v[102:103], v[132:133]
	v_fma_f64 v[108:109], v[136:137], s[4:5], v[82:83]
	v_add_f64 v[82:83], v[6:7], v[110:111]
	v_fma_f64 v[130:131], v[130:131], -0.5, v[6:7]
	v_fma_f64 v[4:5], v[136:137], s[4:5], v[4:5]
	v_add_f64 v[136:137], v[118:119], -v[116:117]
	v_add_f64 v[82:83], v[82:83], v[166:167]
	v_fma_f64 v[98:99], v[128:129], s[14:15], v[130:131]
	v_add_f64 v[82:83], v[82:83], v[122:123]
	v_fma_f64 v[98:99], v[126:127], s[6:7], v[98:99]
	v_add_f64 v[122:123], v[122:123], -v[124:125]
	v_add_f64 v[82:83], v[82:83], v[124:125]
	v_fma_f64 v[102:103], v[132:133], s[4:5], v[98:99]
	v_fma_f64 v[98:99], v[128:129], s[2:3], v[130:131]
	v_add_f64 v[130:131], v[110:111], v[124:125]
	v_add_f64 v[110:111], v[166:167], -v[110:111]
	v_add_f64 v[124:125], v[114:115], v[116:117]
	v_fma_f64 v[98:99], v[126:127], s[8:9], v[98:99]
	v_fma_f64 v[6:7], v[130:131], -0.5, v[6:7]
	v_add_f64 v[122:123], v[110:111], v[122:123]
	v_fma_f64 v[124:125], v[124:125], -0.5, v[0:1]
	v_fma_f64 v[98:99], v[132:133], s[4:5], v[98:99]
	v_fma_f64 v[130:131], v[126:127], s[2:3], v[6:7]
	;; [unrolled: 1-line block ×3, first 2 shown]
	v_add_f64 v[132:133], v[94:95], -v[104:105]
	v_fma_f64 v[130:131], v[128:129], s[6:7], v[130:131]
	v_fma_f64 v[6:7], v[128:129], s[8:9], v[6:7]
	v_add_f64 v[128:129], v[92:93], -v[106:107]
	v_fma_f64 v[110:111], v[122:123], s[4:5], v[130:131]
	v_add_f64 v[130:131], v[112:113], -v[114:115]
	v_fma_f64 v[126:127], v[128:129], s[2:3], v[124:125]
	v_fma_f64 v[124:125], v[128:129], s[14:15], v[124:125]
	;; [unrolled: 1-line block ×3, first 2 shown]
	v_add_f64 v[122:123], v[0:1], v[112:113]
	v_add_f64 v[130:131], v[130:131], v[136:137]
	v_fma_f64 v[126:127], v[132:133], s[8:9], v[126:127]
	v_fma_f64 v[124:125], v[132:133], s[6:7], v[124:125]
	v_add_f64 v[136:137], v[114:115], -v[112:113]
	v_add_f64 v[122:123], v[122:123], v[114:115]
	v_add_f64 v[114:115], v[114:115], -v[116:117]
	v_fma_f64 v[126:127], v[130:131], s[4:5], v[126:127]
	v_fma_f64 v[130:131], v[130:131], s[4:5], v[124:125]
	v_add_f64 v[124:125], v[112:113], v[118:119]
	v_add_f64 v[122:123], v[122:123], v[116:117]
	v_add_f64 v[112:113], v[112:113], -v[118:119]
	v_add_f64 v[136:137], v[136:137], v[138:139]
	v_fma_f64 v[124:125], v[124:125], -0.5, v[0:1]
	v_add_f64 v[122:123], v[122:123], v[118:119]
	v_fma_f64 v[0:1], v[132:133], s[14:15], v[124:125]
	v_fma_f64 v[124:125], v[132:133], s[2:3], v[124:125]
	;; [unrolled: 1-line block ×4, first 2 shown]
	v_add_f64 v[128:129], v[94:95], v[104:105]
	v_fma_f64 v[0:1], v[136:137], s[4:5], v[0:1]
	v_fma_f64 v[136:137], v[136:137], s[4:5], v[124:125]
	v_fma_f64 v[132:133], v[128:129], -0.5, v[2:3]
	v_add_f64 v[128:129], v[106:107], -v[104:105]
	v_add_f64 v[124:125], v[2:3], v[92:93]
	v_fma_f64 v[118:119], v[112:113], s[14:15], v[132:133]
	v_add_f64 v[124:125], v[124:125], v[94:95]
	v_fma_f64 v[116:117], v[114:115], s[6:7], v[118:119]
	v_add_f64 v[118:119], v[92:93], -v[94:95]
	v_add_f64 v[124:125], v[124:125], v[104:105]
	v_add_f64 v[118:119], v[118:119], v[128:129]
	;; [unrolled: 1-line block ×3, first 2 shown]
	v_fma_f64 v[128:129], v[118:119], s[4:5], v[116:117]
	v_fma_f64 v[116:117], v[112:113], s[2:3], v[132:133]
	v_fma_f64 v[116:117], v[114:115], s[8:9], v[116:117]
	v_fma_f64 v[132:133], v[118:119], s[4:5], v[116:117]
	v_add_f64 v[116:117], v[92:93], v[106:107]
	v_add_f64 v[92:93], v[94:95], -v[92:93]
	v_add_f64 v[94:95], v[104:105], -v[106:107]
	v_fma_f64 v[116:117], v[116:117], -0.5, v[2:3]
	v_add_f64 v[92:93], v[92:93], v[94:95]
	v_fma_f64 v[2:3], v[114:115], s[2:3], v[116:117]
	v_fma_f64 v[94:95], v[114:115], s[14:15], v[116:117]
	;; [unrolled: 1-line block ×6, first 2 shown]
	v_mov_b32_e32 v92, 0x4b
	v_mul_u32_u24_sdwa v93, v195, v92 dst_sel:DWORD dst_unused:UNUSED_PAD src0_sel:WORD_0 src1_sel:DWORD
	v_add_lshl_u32 v173, v93, v208, 4
	ds_write_b128 v173, v[12:15]
	ds_write_b128 v173, v[20:23] offset:240
	ds_write_b128 v173, v[28:31] offset:480
	;; [unrolled: 1-line block ×4, first 2 shown]
	v_mul_u32_u24_sdwa v12, v209, v92 dst_sel:DWORD dst_unused:UNUSED_PAD src0_sel:WORD_0 src1_sel:DWORD
	v_add_lshl_u32 v12, v12, v210, 4
	buffer_store_dword v12, off, s[28:31], 0 offset:1828 ; 4-byte Folded Spill
	ds_write_b128 v12, v[36:39]
	ds_write_b128 v12, v[64:67] offset:240
	ds_write_b128 v12, v[76:79] offset:480
	ds_write_b128 v12, v[68:71] offset:720
	ds_write_b128 v12, v[40:43] offset:960
	v_mad_u16 v12, 0x4b, v211, v212
	v_lshlrev_b32_sdwa v12, v193, v12 dst_sel:DWORD dst_unused:UNUSED_PAD src0_sel:DWORD src1_sel:WORD_0
	buffer_store_dword v12, off, s[28:31], 0 offset:1772 ; 4-byte Folded Spill
	ds_write_b128 v12, v[44:47]
	ds_write_b128 v12, v[52:55] offset:240
	ds_write_b128 v12, v[60:63] offset:480
	ds_write_b128 v12, v[32:35] offset:720
	ds_write_b128 v12, v[48:51] offset:960
	v_mad_u16 v12, 0x4b, v213, v214
	v_lshlrev_b32_sdwa v12, v193, v12 dst_sel:DWORD dst_unused:UNUSED_PAD src0_sel:DWORD src1_sel:WORD_0
	;; [unrolled: 8-line block ×4, first 2 shown]
	buffer_store_dword v4, off, s[28:31], 0 offset:508 ; 4-byte Folded Spill
	ds_write_b128 v4, v[122:125]
	ds_write_b128 v4, v[126:129] offset:240
	ds_write_b128 v4, v[0:3] offset:480
	;; [unrolled: 1-line block ×4, first 2 shown]
	v_add_nc_u32_e32 v122, 0xffffffb5, v219
	s_waitcnt lgkmcnt(0)
	s_waitcnt_vscnt null, 0x0
	s_barrier
	buffer_gl0_inv
	ds_read_b128 v[4:7], v134
	ds_read_b128 v[104:107], v134 offset:6000
	ds_read_b128 v[108:111], v134 offset:12000
	;; [unrolled: 1-line block ×29, first 2 shown]
	v_cndmask_b32_e32 v166, v122, v219, vcc_lo
	buffer_store_dword v219, off, s[28:31], 0 offset:488 ; 4-byte Folded Spill
	v_mul_i32_i24_e32 v122, 0x90, v166
	v_mul_hi_i32_i24_e32 v123, 0x90, v166
	v_add_co_u32 v122, vcc_lo, s10, v122
	v_add_co_ci_u32_e32 v123, vcc_lo, s11, v123, vcc_lo
	s_clause 0x3
	global_load_dwordx4 v[140:143], v[122:123], off offset:1200
	global_load_dwordx4 v[128:131], v[122:123], off offset:1184
	;; [unrolled: 1-line block ×4, first 2 shown]
	v_cmp_lt_u16_e32 vcc_lo, 0x4a, v135
	s_waitcnt vmcnt(0) lgkmcnt(28)
	v_mul_f64 v[124:125], v[106:107], v[150:151]
	v_fma_f64 v[138:139], v[104:105], v[148:149], -v[124:125]
	buffer_store_dword v148, off, s[28:31], 0 offset:600 ; 4-byte Folded Spill
	buffer_store_dword v149, off, s[28:31], 0 offset:604 ; 4-byte Folded Spill
	buffer_store_dword v150, off, s[28:31], 0 offset:608 ; 4-byte Folded Spill
	buffer_store_dword v151, off, s[28:31], 0 offset:612 ; 4-byte Folded Spill
	buffer_store_dword v144, off, s[28:31], 0 offset:616 ; 4-byte Folded Spill
	buffer_store_dword v145, off, s[28:31], 0 offset:620 ; 4-byte Folded Spill
	buffer_store_dword v146, off, s[28:31], 0 offset:624 ; 4-byte Folded Spill
	buffer_store_dword v147, off, s[28:31], 0 offset:628 ; 4-byte Folded Spill
	v_mul_f64 v[104:105], v[104:105], v[150:151]
	v_fma_f64 v[126:127], v[106:107], v[148:149], v[104:105]
	s_waitcnt lgkmcnt(27)
	v_mul_f64 v[104:105], v[110:111], v[146:147]
	v_fma_f64 v[150:151], v[108:109], v[144:145], -v[104:105]
	v_mul_f64 v[104:105], v[108:109], v[146:147]
	v_mov_b32_e32 v106, v128
	v_mov_b32_e32 v107, v129
	;; [unrolled: 1-line block ×4, first 2 shown]
	buffer_store_dword v106, off, s[28:31], 0 offset:632 ; 4-byte Folded Spill
	buffer_store_dword v107, off, s[28:31], 0 offset:636 ; 4-byte Folded Spill
	;; [unrolled: 1-line block ×8, first 2 shown]
	v_fma_f64 v[146:147], v[110:111], v[144:145], v[104:105]
	s_waitcnt lgkmcnt(26)
	v_mul_f64 v[104:105], v[114:115], v[108:109]
	v_fma_f64 v[130:131], v[112:113], v[106:107], -v[104:105]
	v_mul_f64 v[104:105], v[112:113], v[108:109]
	v_fma_f64 v[128:129], v[114:115], v[106:107], v[104:105]
	s_waitcnt lgkmcnt(25)
	v_mul_f64 v[104:105], v[118:119], v[142:143]
	v_fma_f64 v[152:153], v[116:117], v[140:141], -v[104:105]
	v_mul_f64 v[104:105], v[116:117], v[142:143]
	v_fma_f64 v[148:149], v[118:119], v[140:141], v[104:105]
	s_clause 0x3
	global_load_dwordx4 v[106:109], v[122:123], off offset:1264
	global_load_dwordx4 v[110:113], v[122:123], off offset:1248
	;; [unrolled: 1-line block ×4, first 2 shown]
	s_waitcnt vmcnt(0) lgkmcnt(24)
	v_mul_f64 v[104:105], v[102:103], v[142:143]
	v_fma_f64 v[162:163], v[100:101], v[140:141], -v[104:105]
	buffer_store_dword v140, off, s[28:31], 0 offset:668 ; 4-byte Folded Spill
	buffer_store_dword v141, off, s[28:31], 0 offset:672 ; 4-byte Folded Spill
	;; [unrolled: 1-line block ×16, first 2 shown]
	v_mul_f64 v[100:101], v[100:101], v[142:143]
	v_fma_f64 v[132:133], v[102:103], v[140:141], v[100:101]
	s_waitcnt lgkmcnt(23)
	v_mul_f64 v[100:101], v[98:99], v[116:117]
	v_fma_f64 v[158:159], v[96:97], v[114:115], -v[100:101]
	v_mul_f64 v[96:97], v[96:97], v[116:117]
	v_fma_f64 v[154:155], v[98:99], v[114:115], v[96:97]
	s_waitcnt lgkmcnt(22)
	v_mul_f64 v[96:97], v[94:95], v[112:113]
	v_fma_f64 v[140:141], v[92:93], v[110:111], -v[96:97]
	;; [unrolled: 5-line block ×3, first 2 shown]
	v_mul_f64 v[88:89], v[88:89], v[108:109]
	v_fma_f64 v[156:157], v[90:91], v[106:107], v[88:89]
	global_load_dwordx4 v[90:93], v[122:123], off offset:1280
	s_waitcnt vmcnt(0)
	buffer_store_dword v90, off, s[28:31], 0 offset:700 ; 4-byte Folded Spill
	buffer_store_dword v91, off, s[28:31], 0 offset:704 ; 4-byte Folded Spill
	;; [unrolled: 1-line block ×4, first 2 shown]
	s_waitcnt lgkmcnt(20)
	v_mul_f64 v[88:89], v[86:87], v[92:93]
	v_fma_f64 v[144:145], v[84:85], v[90:91], -v[88:89]
	v_mul_f64 v[84:85], v[84:85], v[92:93]
	v_fma_f64 v[142:143], v[86:87], v[90:91], v[84:85]
	v_mul_lo_u16 v84, 0xdb, v194
	v_lshrrev_b16 v167, 14, v84
	v_mul_lo_u16 v84, 0x4b, v167
	v_sub_nc_u16 v84, v168, v84
	v_and_b32_e32 v172, 0xff, v84
	v_mad_u64_u32 v[92:93], null, 0x90, v172, s[10:11]
	s_clause 0x3
	global_load_dwordx4 v[94:97], v[92:93], off offset:1200
	global_load_dwordx4 v[100:103], v[92:93], off offset:1184
	;; [unrolled: 1-line block ×4, first 2 shown]
	s_waitcnt vmcnt(0) lgkmcnt(18)
	v_mul_f64 v[84:85], v[82:83], v[110:111]
	v_fma_f64 v[88:89], v[80:81], v[108:109], -v[84:85]
	buffer_store_dword v108, off, s[28:31], 0 offset:816 ; 4-byte Folded Spill
	buffer_store_dword v109, off, s[28:31], 0 offset:820 ; 4-byte Folded Spill
	;; [unrolled: 1-line block ×16, first 2 shown]
	v_mul_f64 v[80:81], v[80:81], v[110:111]
	v_fma_f64 v[84:85], v[82:83], v[108:109], v[80:81]
	s_waitcnt lgkmcnt(17)
	v_mul_f64 v[80:81], v[78:79], v[106:107]
	v_fma_f64 v[98:99], v[76:77], v[104:105], -v[80:81]
	v_mul_f64 v[76:77], v[76:77], v[106:107]
	v_fma_f64 v[90:91], v[78:79], v[104:105], v[76:77]
	s_waitcnt lgkmcnt(16)
	v_mul_f64 v[76:77], v[74:75], v[102:103]
	v_fma_f64 v[78:79], v[72:73], v[100:101], -v[76:77]
	;; [unrolled: 5-line block ×3, first 2 shown]
	s_clause 0x3
	global_load_dwordx4 v[72:75], v[92:93], off offset:1264
	global_load_dwordx4 v[80:83], v[92:93], off offset:1248
	;; [unrolled: 1-line block ×4, first 2 shown]
	v_mul_f64 v[64:65], v[64:65], v[96:97]
	v_fma_f64 v[96:97], v[66:67], v[94:95], v[64:65]
	s_waitcnt vmcnt(0) lgkmcnt(14)
	v_mul_f64 v[64:65], v[62:63], v[106:107]
	v_fma_f64 v[86:87], v[60:61], v[104:105], -v[64:65]
	buffer_store_dword v104, off, s[28:31], 0 offset:1012 ; 4-byte Folded Spill
	buffer_store_dword v105, off, s[28:31], 0 offset:1016 ; 4-byte Folded Spill
	;; [unrolled: 1-line block ×16, first 2 shown]
	v_mul_f64 v[60:61], v[60:61], v[106:107]
	v_fma_f64 v[60:61], v[62:63], v[104:105], v[60:61]
	s_waitcnt lgkmcnt(13)
	v_mul_f64 v[62:63], v[58:59], v[102:103]
	v_fma_f64 v[124:125], v[56:57], v[100:101], -v[62:63]
	v_mul_f64 v[56:57], v[56:57], v[102:103]
	v_fma_f64 v[122:123], v[58:59], v[100:101], v[56:57]
	s_waitcnt lgkmcnt(12)
	v_mul_f64 v[56:57], v[54:55], v[82:83]
	v_fma_f64 v[62:63], v[52:53], v[80:81], -v[56:57]
	global_load_dwordx4 v[56:59], v[92:93], off offset:1280
	v_mul_f64 v[52:53], v[52:53], v[82:83]
	v_fma_f64 v[52:53], v[54:55], v[80:81], v[52:53]
	s_waitcnt lgkmcnt(11)
	v_mul_f64 v[54:55], v[50:51], v[74:75]
	v_fma_f64 v[54:55], v[48:49], v[72:73], -v[54:55]
	v_mul_f64 v[48:49], v[48:49], v[74:75]
	v_fma_f64 v[50:51], v[50:51], v[72:73], v[48:49]
	s_waitcnt vmcnt(0) lgkmcnt(10)
	v_mul_f64 v[48:49], v[46:47], v[58:59]
	v_fma_f64 v[48:49], v[44:45], v[56:57], -v[48:49]
	buffer_store_dword v56, off, s[28:31], 0 offset:1140 ; 4-byte Folded Spill
	buffer_store_dword v57, off, s[28:31], 0 offset:1144 ; 4-byte Folded Spill
	;; [unrolled: 1-line block ×4, first 2 shown]
	v_mul_f64 v[44:45], v[44:45], v[58:59]
	v_fma_f64 v[44:45], v[46:47], v[56:57], v[44:45]
	v_mov_b32_e32 v46, 0xb4e9
	v_mul_u32_u24_sdwa v46, v169, v46 dst_sel:DWORD dst_unused:UNUSED_PAD src0_sel:WORD_0 src1_sel:DWORD
	v_lshrrev_b32_e32 v46, 16, v46
	v_sub_nc_u16 v47, v169, v46
	v_lshrrev_b16 v47, 1, v47
	v_add_nc_u16 v46, v47, v46
	v_lshrrev_b16 v175, 6, v46
	v_mul_lo_u16 v46, 0x4b, v175
	v_sub_nc_u16 v184, v169, v46
	v_mul_lo_u16 v46, 0x90, v184
	v_and_b32_e32 v46, 0xffff, v46
	v_add_co_u32 v46, s20, s10, v46
	v_add_co_ci_u32_e64 v47, null, s11, 0, s20
	s_clause 0x3
	global_load_dwordx4 v[64:67], v[46:47], off offset:1200
	global_load_dwordx4 v[72:75], v[46:47], off offset:1184
	global_load_dwordx4 v[80:83], v[46:47], off offset:1168
	global_load_dwordx4 v[92:95], v[46:47], off offset:1152
	s_mov_b32 s20, 0x9b97f4a8
	s_mov_b32 s21, 0x3fe9e377
	;; [unrolled: 1-line block ×3, first 2 shown]
	s_waitcnt vmcnt(0) lgkmcnt(8)
	v_mul_f64 v[56:57], v[42:43], v[94:95]
	v_fma_f64 v[100:101], v[40:41], v[92:93], -v[56:57]
	buffer_store_dword v92, off, s[28:31], 0 offset:1352 ; 4-byte Folded Spill
	buffer_store_dword v93, off, s[28:31], 0 offset:1356 ; 4-byte Folded Spill
	;; [unrolled: 1-line block ×8, first 2 shown]
	v_mul_f64 v[40:41], v[40:41], v[94:95]
	v_fma_f64 v[56:57], v[42:43], v[92:93], v[40:41]
	s_waitcnt lgkmcnt(7)
	v_mul_f64 v[40:41], v[38:39], v[82:83]
	v_fma_f64 v[108:109], v[36:37], v[80:81], -v[40:41]
	v_mul_f64 v[36:37], v[36:37], v[82:83]
	v_fma_f64 v[104:105], v[38:39], v[80:81], v[36:37]
	v_mov_b32_e32 v38, v72
	v_mov_b32_e32 v39, v73
	;; [unrolled: 1-line block ×4, first 2 shown]
	buffer_store_dword v38, off, s[28:31], 0 offset:1384 ; 4-byte Folded Spill
	buffer_store_dword v39, off, s[28:31], 0 offset:1388 ; 4-byte Folded Spill
	;; [unrolled: 1-line block ×8, first 2 shown]
	s_waitcnt lgkmcnt(6)
	v_mul_f64 v[36:37], v[34:35], v[40:41]
	v_fma_f64 v[72:73], v[32:33], v[38:39], -v[36:37]
	v_mul_f64 v[32:33], v[32:33], v[40:41]
	v_fma_f64 v[58:59], v[34:35], v[38:39], v[32:33]
	s_waitcnt lgkmcnt(5)
	v_mul_f64 v[32:33], v[30:31], v[66:67]
	v_fma_f64 v[110:111], v[28:29], v[64:65], -v[32:33]
	v_mul_f64 v[28:29], v[28:29], v[66:67]
	v_fma_f64 v[106:107], v[30:31], v[64:65], v[28:29]
	s_clause 0x3
	global_load_dwordx4 v[30:33], v[46:47], off offset:1264
	global_load_dwordx4 v[34:37], v[46:47], off offset:1248
	;; [unrolled: 1-line block ×4, first 2 shown]
	s_waitcnt vmcnt(0) lgkmcnt(4)
	v_mul_f64 v[28:29], v[26:27], v[66:67]
	v_fma_f64 v[80:81], v[24:25], v[64:65], -v[28:29]
	buffer_store_dword v64, off, s[28:31], 0 offset:1560 ; 4-byte Folded Spill
	buffer_store_dword v65, off, s[28:31], 0 offset:1564 ; 4-byte Folded Spill
	;; [unrolled: 1-line block ×16, first 2 shown]
	global_load_dwordx4 v[252:255], v[46:47], off offset:1280
	s_waitcnt vmcnt(0) lgkmcnt(0)
	s_waitcnt_vscnt null, 0x0
	s_barrier
	buffer_gl0_inv
	v_mul_f64 v[24:25], v[24:25], v[66:67]
	v_fma_f64 v[74:75], v[26:27], v[64:65], v[24:25]
	v_mul_f64 v[24:25], v[22:23], v[40:41]
	v_fma_f64 v[116:117], v[20:21], v[38:39], -v[24:25]
	v_mul_f64 v[20:21], v[20:21], v[40:41]
	v_fma_f64 v[112:113], v[22:23], v[38:39], v[20:21]
	v_mul_f64 v[20:21], v[18:19], v[36:37]
	v_fma_f64 v[92:93], v[16:17], v[34:35], -v[20:21]
	v_mul_f64 v[16:17], v[16:17], v[36:37]
	v_add_f64 v[20:21], v[136:137], -v[142:143]
	v_fma_f64 v[82:83], v[18:19], v[34:35], v[16:17]
	v_mul_f64 v[16:17], v[14:15], v[32:33]
	v_add_f64 v[18:19], v[160:161], -v[158:159]
	v_fma_f64 v[118:119], v[12:13], v[30:31], -v[16:17]
	v_mul_f64 v[12:13], v[12:13], v[32:33]
	v_add_f64 v[16:17], v[150:151], -v[152:153]
	v_fma_f64 v[114:115], v[14:15], v[30:31], v[12:13]
	v_mul_f64 v[12:13], v[10:11], v[254:255]
	v_add_f64 v[14:15], v[148:149], -v[154:155]
	v_add_f64 v[16:17], v[16:17], v[18:19]
	v_add_f64 v[18:19], v[142:143], -v[136:137]
	v_fma_f64 v[102:103], v[8:9], v[252:253], -v[12:13]
	v_mul_f64 v[8:9], v[8:9], v[254:255]
	v_fma_f64 v[94:95], v[10:11], v[252:253], v[8:9]
	v_add_f64 v[8:9], v[4:5], v[150:151]
	v_add_f64 v[10:11], v[146:147], -v[156:157]
	v_add_f64 v[8:9], v[8:9], v[152:153]
	v_add_f64 v[8:9], v[8:9], v[158:159]
	;; [unrolled: 1-line block ×4, first 2 shown]
	v_fma_f64 v[8:9], v[8:9], -0.5, v[4:5]
	v_fma_f64 v[12:13], v[10:11], s[2:3], v[8:9]
	v_fma_f64 v[8:9], v[10:11], s[14:15], v[8:9]
	;; [unrolled: 1-line block ×6, first 2 shown]
	v_add_f64 v[8:9], v[150:151], v[160:161]
	v_add_f64 v[12:13], v[152:153], -v[150:151]
	v_add_f64 v[16:17], v[158:159], -v[160:161]
	v_fma_f64 v[4:5], v[8:9], -0.5, v[4:5]
	v_add_f64 v[12:13], v[12:13], v[16:17]
	v_add_f64 v[16:17], v[156:157], -v[154:155]
	v_fma_f64 v[8:9], v[14:15], s[14:15], v[4:5]
	v_fma_f64 v[4:5], v[14:15], s[2:3], v[4:5]
	v_add_f64 v[14:15], v[146:147], -v[148:149]
	v_fma_f64 v[8:9], v[10:11], s[8:9], v[8:9]
	v_fma_f64 v[4:5], v[10:11], s[6:7], v[4:5]
	v_add_f64 v[14:15], v[14:15], v[16:17]
	v_add_f64 v[16:17], v[140:141], -v[144:145]
	v_fma_f64 v[36:37], v[12:13], s[4:5], v[8:9]
	v_fma_f64 v[46:47], v[12:13], s[4:5], v[4:5]
	v_add_f64 v[4:5], v[6:7], v[146:147]
	v_add_f64 v[8:9], v[150:151], -v[160:161]
	v_add_f64 v[12:13], v[152:153], -v[158:159]
	v_add_f64 v[4:5], v[4:5], v[148:149]
	v_add_f64 v[4:5], v[4:5], v[154:155]
	;; [unrolled: 1-line block ×4, first 2 shown]
	v_fma_f64 v[4:5], v[4:5], -0.5, v[6:7]
	v_fma_f64 v[10:11], v[8:9], s[14:15], v[4:5]
	v_fma_f64 v[4:5], v[8:9], s[2:3], v[4:5]
	v_fma_f64 v[10:11], v[12:13], s[6:7], v[10:11]
	v_fma_f64 v[4:5], v[12:13], s[8:9], v[4:5]
	v_fma_f64 v[34:35], v[14:15], s[4:5], v[10:11]
	v_fma_f64 v[26:27], v[14:15], s[4:5], v[4:5]
	v_add_f64 v[4:5], v[146:147], v[156:157]
	v_add_f64 v[10:11], v[148:149], -v[146:147]
	v_add_f64 v[14:15], v[154:155], -v[156:157]
	v_fma_f64 v[4:5], v[4:5], -0.5, v[6:7]
	v_add_f64 v[10:11], v[10:11], v[14:15]
	v_add_f64 v[14:15], v[144:145], -v[140:141]
	v_fma_f64 v[6:7], v[12:13], s[2:3], v[4:5]
	v_fma_f64 v[4:5], v[12:13], s[14:15], v[4:5]
	v_add_f64 v[12:13], v[130:131], -v[162:163]
	v_fma_f64 v[6:7], v[8:9], s[6:7], v[6:7]
	v_fma_f64 v[4:5], v[8:9], s[8:9], v[4:5]
	v_add_f64 v[12:13], v[12:13], v[14:15]
	v_fma_f64 v[32:33], v[10:11], s[4:5], v[6:7]
	v_fma_f64 v[30:31], v[10:11], s[4:5], v[4:5]
	v_add_f64 v[4:5], v[138:139], v[130:131]
	v_add_f64 v[6:7], v[128:129], -v[142:143]
	v_add_f64 v[10:11], v[132:133], -v[136:137]
	v_add_f64 v[4:5], v[4:5], v[162:163]
	v_add_f64 v[4:5], v[4:5], v[140:141]
	;; [unrolled: 1-line block ×4, first 2 shown]
	v_fma_f64 v[4:5], v[4:5], -0.5, v[138:139]
	v_fma_f64 v[8:9], v[6:7], s[2:3], v[4:5]
	v_fma_f64 v[4:5], v[6:7], s[14:15], v[4:5]
	;; [unrolled: 1-line block ×6, first 2 shown]
	v_add_f64 v[4:5], v[130:131], v[144:145]
	v_add_f64 v[12:13], v[162:163], -v[130:131]
	v_fma_f64 v[4:5], v[4:5], -0.5, v[138:139]
	v_add_f64 v[12:13], v[12:13], v[16:17]
	v_add_f64 v[16:17], v[128:129], -v[132:133]
	v_fma_f64 v[8:9], v[10:11], s[14:15], v[4:5]
	v_fma_f64 v[4:5], v[10:11], s[2:3], v[4:5]
	v_add_f64 v[16:17], v[16:17], v[18:19]
	v_add_f64 v[18:19], v[132:133], -v[128:129]
	v_fma_f64 v[8:9], v[6:7], s[8:9], v[8:9]
	v_fma_f64 v[4:5], v[6:7], s[6:7], v[4:5]
	v_add_f64 v[18:19], v[18:19], v[20:21]
	v_add_f64 v[20:21], v[24:25], v[40:41]
	v_fma_f64 v[66:67], v[12:13], s[4:5], v[8:9]
	v_fma_f64 v[6:7], v[12:13], s[4:5], v[4:5]
	v_add_f64 v[4:5], v[126:127], v[128:129]
	v_add_f64 v[8:9], v[130:131], -v[144:145]
	v_add_f64 v[12:13], v[162:163], -v[140:141]
	v_add_f64 v[4:5], v[4:5], v[132:133]
	v_add_f64 v[4:5], v[4:5], v[136:137]
	;; [unrolled: 1-line block ×5, first 2 shown]
	v_fma_f64 v[4:5], v[4:5], -0.5, v[126:127]
	v_fma_f64 v[10:11], v[8:9], s[14:15], v[4:5]
	v_fma_f64 v[4:5], v[8:9], s[2:3], v[4:5]
	;; [unrolled: 1-line block ×6, first 2 shown]
	v_add_f64 v[4:5], v[128:129], v[142:143]
	v_fma_f64 v[4:5], v[4:5], -0.5, v[126:127]
	v_fma_f64 v[16:17], v[12:13], s[2:3], v[4:5]
	v_fma_f64 v[4:5], v[12:13], s[14:15], v[4:5]
	;; [unrolled: 1-line block ×6, first 2 shown]
	v_mul_f64 v[4:5], v[10:11], s[8:9]
	v_fma_f64 v[132:133], v[14:15], s[20:21], v[4:5]
	v_mul_f64 v[4:5], v[126:127], s[2:3]
	v_mul_f64 v[14:15], v[14:15], s[6:7]
	v_add_f64 v[16:17], v[28:29], v[132:133]
	v_fma_f64 v[136:137], v[66:67], s[4:5], v[4:5]
	v_mul_f64 v[4:5], v[6:7], s[22:23]
	v_fma_f64 v[144:145], v[10:11], s[20:21], v[14:15]
	v_mul_f64 v[10:11], v[66:67], s[14:15]
	v_add_f64 v[66:67], v[42:43], -v[138:139]
	v_add_f64 v[12:13], v[36:37], v[136:137]
	v_fma_f64 v[140:141], v[128:129], s[2:3], v[4:5]
	v_mul_f64 v[4:5], v[64:65], s[24:25]
	v_fma_f64 v[126:127], v[126:127], s[4:5], v[10:11]
	v_mul_f64 v[10:11], v[128:129], s[22:23]
	v_add_f64 v[18:19], v[34:35], v[144:145]
	v_add_f64 v[42:43], v[34:35], -v[144:145]
	v_add_f64 v[34:35], v[90:91], -v[50:51]
	;; [unrolled: 1-line block ×4, first 2 shown]
	v_add_f64 v[8:9], v[46:47], v[140:141]
	v_fma_f64 v[142:143], v[130:131], s[8:9], v[4:5]
	v_add_f64 v[14:15], v[32:33], v[126:127]
	v_fma_f64 v[128:129], v[6:7], s[14:15], v[10:11]
	v_mul_f64 v[6:7], v[130:131], s[24:25]
	v_add_f64 v[4:5], v[38:39], v[142:143]
	v_add_f64 v[10:11], v[30:31], v[128:129]
	v_fma_f64 v[130:131], v[64:65], s[6:7], v[6:7]
	v_add_f64 v[64:65], v[24:25], -v[40:41]
	v_add_f64 v[24:25], v[38:39], -v[142:143]
	;; [unrolled: 1-line block ×3, first 2 shown]
	v_add_f64 v[32:33], v[68:69], v[98:99]
	v_add_f64 v[30:31], v[30:31], -v[128:129]
	v_add_f64 v[40:41], v[28:29], -v[132:133]
	;; [unrolled: 1-line block ×5, first 2 shown]
	v_add_f64 v[6:7], v[26:27], v[130:131]
	v_add_f64 v[26:27], v[26:27], -v[130:131]
	v_add_f64 v[130:131], v[98:99], -v[164:165]
	v_add_f64 v[32:33], v[32:33], v[164:165]
	v_add_f64 v[132:133], v[130:131], v[132:133]
	;; [unrolled: 1-line block ×5, first 2 shown]
	v_fma_f64 v[32:33], v[32:33], -0.5, v[68:69]
	v_fma_f64 v[46:47], v[34:35], s[2:3], v[32:33]
	v_fma_f64 v[32:33], v[34:35], s[14:15], v[32:33]
	;; [unrolled: 1-line block ×6, first 2 shown]
	v_add_f64 v[32:33], v[98:99], v[54:55]
	v_fma_f64 v[32:33], v[32:33], -0.5, v[68:69]
	v_add_f64 v[68:69], v[164:165], -v[98:99]
	v_fma_f64 v[46:47], v[126:127], s[14:15], v[32:33]
	v_fma_f64 v[32:33], v[126:127], s[2:3], v[32:33]
	v_add_f64 v[68:69], v[68:69], v[136:137]
	v_fma_f64 v[46:47], v[34:35], s[8:9], v[46:47]
	v_fma_f64 v[32:33], v[34:35], s[6:7], v[32:33]
	v_add_f64 v[34:35], v[98:99], -v[54:55]
	v_add_f64 v[54:55], v[164:165], -v[124:125]
	;; [unrolled: 1-line block ×3, first 2 shown]
	v_fma_f64 v[138:139], v[68:69], s[4:5], v[46:47]
	v_fma_f64 v[140:141], v[68:69], s[4:5], v[32:33]
	v_add_f64 v[32:33], v[70:71], v[90:91]
	v_add_f64 v[68:69], v[90:91], -v[96:97]
	v_add_f64 v[32:33], v[32:33], v[96:97]
	v_add_f64 v[68:69], v[68:69], v[98:99]
	;; [unrolled: 1-line block ×5, first 2 shown]
	v_fma_f64 v[32:33], v[32:33], -0.5, v[70:71]
	v_fma_f64 v[46:47], v[34:35], s[14:15], v[32:33]
	v_fma_f64 v[32:33], v[34:35], s[2:3], v[32:33]
	;; [unrolled: 1-line block ×6, first 2 shown]
	v_add_f64 v[32:33], v[90:91], v[50:51]
	v_add_f64 v[68:69], v[96:97], -v[90:91]
	v_add_f64 v[50:51], v[122:123], -v[50:51]
	v_fma_f64 v[32:33], v[32:33], -0.5, v[70:71]
	v_add_f64 v[70:71], v[62:63], -v[48:49]
	v_add_f64 v[50:51], v[68:69], v[50:51]
	v_add_f64 v[68:69], v[48:49], -v[62:63]
	v_fma_f64 v[46:47], v[54:55], s[2:3], v[32:33]
	v_fma_f64 v[32:33], v[54:55], s[14:15], v[32:33]
	v_add_f64 v[54:55], v[78:79], -v[86:87]
	v_fma_f64 v[46:47], v[34:35], s[6:7], v[46:47]
	v_fma_f64 v[32:33], v[34:35], s[8:9], v[32:33]
	v_add_f64 v[34:35], v[76:77], -v[44:45]
	v_add_f64 v[54:55], v[54:55], v[68:69]
	v_add_f64 v[68:69], v[86:87], -v[78:79]
	v_fma_f64 v[124:125], v[50:51], s[4:5], v[46:47]
	v_fma_f64 v[122:123], v[50:51], s[4:5], v[32:33]
	v_add_f64 v[32:33], v[88:89], v[78:79]
	v_add_f64 v[50:51], v[60:61], -v[52:53]
	v_add_f64 v[68:69], v[68:69], v[70:71]
	v_add_f64 v[32:33], v[32:33], v[86:87]
	;; [unrolled: 1-line block ×5, first 2 shown]
	v_fma_f64 v[32:33], v[32:33], -0.5, v[88:89]
	v_fma_f64 v[46:47], v[34:35], s[2:3], v[32:33]
	v_fma_f64 v[32:33], v[34:35], s[14:15], v[32:33]
	;; [unrolled: 1-line block ×6, first 2 shown]
	v_add_f64 v[32:33], v[78:79], v[48:49]
	v_add_f64 v[48:49], v[78:79], -v[48:49]
	v_fma_f64 v[32:33], v[32:33], -0.5, v[88:89]
	v_fma_f64 v[54:55], v[50:51], s[14:15], v[32:33]
	v_fma_f64 v[32:33], v[50:51], s[2:3], v[32:33]
	;; [unrolled: 1-line block ×6, first 2 shown]
	v_add_f64 v[32:33], v[84:85], v[76:77]
	v_add_f64 v[54:55], v[86:87], -v[62:63]
	v_add_f64 v[62:63], v[76:77], -v[60:61]
	;; [unrolled: 1-line block ×3, first 2 shown]
	v_add_f64 v[32:33], v[32:33], v[60:61]
	v_add_f64 v[62:63], v[62:63], v[68:69]
	;; [unrolled: 1-line block ×5, first 2 shown]
	v_add_f64 v[60:61], v[60:61], -v[76:77]
	v_add_f64 v[70:71], v[142:143], v[98:99]
	v_fma_f64 v[32:33], v[32:33], -0.5, v[84:85]
	v_add_f64 v[98:99], v[142:143], -v[98:99]
	v_fma_f64 v[50:51], v[48:49], s[14:15], v[32:33]
	v_fma_f64 v[32:33], v[48:49], s[2:3], v[32:33]
	v_fma_f64 v[50:51], v[54:55], s[6:7], v[50:51]
	v_fma_f64 v[32:33], v[54:55], s[8:9], v[32:33]
	v_fma_f64 v[50:51], v[62:63], s[4:5], v[50:51]
	v_fma_f64 v[62:63], v[62:63], s[4:5], v[32:33]
	v_add_f64 v[32:33], v[76:77], v[44:45]
	v_add_f64 v[44:45], v[52:53], -v[44:45]
	v_fma_f64 v[32:33], v[32:33], -0.5, v[84:85]
	v_add_f64 v[44:45], v[60:61], v[44:45]
	v_fma_f64 v[68:69], v[54:55], s[2:3], v[32:33]
	v_fma_f64 v[32:33], v[54:55], s[14:15], v[32:33]
	;; [unrolled: 1-line block ×6, first 2 shown]
	v_mul_f64 v[32:33], v[50:51], s[8:9]
	v_add_f64 v[68:69], v[128:129], v[90:91]
	v_fma_f64 v[78:79], v[46:47], s[20:21], v[32:33]
	v_mul_f64 v[46:47], v[46:47], s[6:7]
	v_mul_f64 v[32:33], v[60:61], s[2:3]
	v_add_f64 v[52:53], v[130:131], v[78:79]
	v_fma_f64 v[146:147], v[50:51], s[20:21], v[46:47]
	v_mul_f64 v[46:47], v[88:89], s[14:15]
	v_fma_f64 v[84:85], v[88:89], s[4:5], v[32:33]
	v_add_f64 v[88:89], v[130:131], -v[78:79]
	v_mul_f64 v[32:33], v[34:35], s[22:23]
	v_add_f64 v[130:131], v[104:105], -v[114:115]
	v_add_f64 v[54:55], v[126:127], v[146:147]
	v_fma_f64 v[148:149], v[60:61], s[4:5], v[46:47]
	v_mul_f64 v[46:47], v[76:77], s[22:23]
	v_add_f64 v[48:49], v[138:139], v[84:85]
	v_fma_f64 v[86:87], v[76:77], s[2:3], v[32:33]
	v_mul_f64 v[32:33], v[96:97], s[24:25]
	v_add_f64 v[84:85], v[138:139], -v[84:85]
	v_add_f64 v[138:139], v[116:117], -v[118:119]
	v_add_f64 v[50:51], v[124:125], v[148:149]
	v_fma_f64 v[150:151], v[34:35], s[14:15], v[46:47]
	v_mul_f64 v[34:35], v[62:63], s[24:25]
	v_add_f64 v[44:45], v[140:141], v[86:87]
	v_add_f64 v[76:77], v[140:141], -v[86:87]
	v_add_f64 v[86:87], v[124:125], -v[148:149]
	v_fma_f64 v[144:145], v[62:63], s[8:9], v[32:33]
	v_add_f64 v[46:47], v[122:123], v[150:151]
	v_add_f64 v[78:79], v[122:123], -v[150:151]
	v_add_f64 v[122:123], v[0:1], v[108:109]
	v_fma_f64 v[62:63], v[96:97], s[6:7], v[34:35]
	v_add_f64 v[96:97], v[128:129], -v[90:91]
	v_add_f64 v[32:33], v[132:133], v[144:145]
	v_add_f64 v[60:61], v[132:133], -v[144:145]
	v_add_f64 v[90:91], v[126:127], -v[146:147]
	;; [unrolled: 1-line block ×4, first 2 shown]
	v_add_f64 v[122:123], v[122:123], v[110:111]
	v_add_f64 v[34:35], v[136:137], v[62:63]
	v_add_f64 v[62:63], v[136:137], -v[62:63]
	v_add_f64 v[136:137], v[118:119], -v[116:117]
	v_add_f64 v[122:123], v[122:123], v[116:117]
	v_add_f64 v[128:129], v[128:129], v[136:137]
	v_add_f64 v[136:137], v[110:111], -v[108:109]
	v_add_f64 v[124:125], v[122:123], v[118:119]
	v_add_f64 v[122:123], v[110:111], v[116:117]
	v_add_f64 v[116:117], v[110:111], -v[116:117]
	v_add_f64 v[136:137], v[136:137], v[138:139]
	v_fma_f64 v[122:123], v[122:123], -0.5, v[0:1]
	v_fma_f64 v[126:127], v[130:131], s[2:3], v[122:123]
	v_fma_f64 v[122:123], v[130:131], s[14:15], v[122:123]
	;; [unrolled: 1-line block ×6, first 2 shown]
	v_add_f64 v[122:123], v[108:109], v[118:119]
	v_add_f64 v[108:109], v[108:109], -v[118:119]
	v_fma_f64 v[0:1], v[122:123], -0.5, v[0:1]
	v_fma_f64 v[122:123], v[132:133], s[14:15], v[0:1]
	v_fma_f64 v[0:1], v[132:133], s[2:3], v[0:1]
	;; [unrolled: 1-line block ×6, first 2 shown]
	v_add_f64 v[0:1], v[2:3], v[104:105]
	v_add_f64 v[122:123], v[114:115], -v[112:113]
	v_add_f64 v[0:1], v[0:1], v[106:107]
	v_add_f64 v[0:1], v[0:1], v[112:113]
	;; [unrolled: 1-line block ×4, first 2 shown]
	v_fma_f64 v[0:1], v[0:1], -0.5, v[2:3]
	v_fma_f64 v[118:119], v[108:109], s[14:15], v[0:1]
	v_fma_f64 v[0:1], v[108:109], s[2:3], v[0:1]
	;; [unrolled: 1-line block ×3, first 2 shown]
	v_add_f64 v[118:119], v[104:105], -v[106:107]
	v_fma_f64 v[0:1], v[116:117], s[8:9], v[0:1]
	v_add_f64 v[118:119], v[118:119], v[122:123]
	v_fma_f64 v[130:131], v[118:119], s[4:5], v[0:1]
	v_add_f64 v[0:1], v[104:105], v[114:115]
	v_add_f64 v[104:105], v[106:107], -v[104:105]
	v_add_f64 v[106:107], v[112:113], -v[114:115]
	v_fma_f64 v[122:123], v[118:119], s[4:5], v[110:111]
	v_add_f64 v[112:113], v[74:75], -v[82:83]
	v_add_f64 v[114:115], v[72:73], -v[80:81]
	;; [unrolled: 1-line block ×3, first 2 shown]
	v_fma_f64 v[0:1], v[0:1], -0.5, v[2:3]
	v_add_f64 v[104:105], v[104:105], v[106:107]
	v_fma_f64 v[2:3], v[116:117], s[2:3], v[0:1]
	v_fma_f64 v[0:1], v[116:117], s[14:15], v[0:1]
	v_add_f64 v[116:117], v[102:103], -v[92:93]
	v_fma_f64 v[2:3], v[108:109], s[6:7], v[2:3]
	v_fma_f64 v[0:1], v[108:109], s[8:9], v[0:1]
	v_add_f64 v[114:115], v[114:115], v[116:117]
	v_add_f64 v[116:117], v[80:81], -v[72:73]
	v_fma_f64 v[110:111], v[104:105], s[4:5], v[2:3]
	v_fma_f64 v[106:107], v[104:105], s[4:5], v[0:1]
	v_add_f64 v[0:1], v[100:101], v[72:73]
	v_add_f64 v[2:3], v[58:59], -v[94:95]
	v_add_f64 v[116:117], v[116:117], v[118:119]
	v_add_f64 v[0:1], v[0:1], v[80:81]
	;; [unrolled: 1-line block ×5, first 2 shown]
	v_add_f64 v[80:81], v[80:81], -v[92:93]
	v_fma_f64 v[0:1], v[0:1], -0.5, v[100:101]
	v_fma_f64 v[108:109], v[2:3], s[2:3], v[0:1]
	v_fma_f64 v[0:1], v[2:3], s[14:15], v[0:1]
	;; [unrolled: 1-line block ×6, first 2 shown]
	v_add_f64 v[0:1], v[72:73], v[102:103]
	v_add_f64 v[72:73], v[72:73], -v[102:103]
	v_fma_f64 v[0:1], v[0:1], -0.5, v[100:101]
	v_fma_f64 v[100:101], v[112:113], s[14:15], v[0:1]
	v_fma_f64 v[0:1], v[112:113], s[2:3], v[0:1]
	v_add_f64 v[112:113], v[94:95], -v[82:83]
	v_fma_f64 v[100:101], v[2:3], s[8:9], v[100:101]
	v_fma_f64 v[0:1], v[2:3], s[6:7], v[0:1]
	;; [unrolled: 1-line block ×4, first 2 shown]
	v_add_f64 v[0:1], v[56:57], v[58:59]
	v_add_f64 v[116:117], v[124:125], -v[104:105]
	v_add_f64 v[0:1], v[0:1], v[74:75]
	v_add_f64 v[0:1], v[0:1], v[82:83]
	;; [unrolled: 1-line block ×4, first 2 shown]
	v_fma_f64 v[0:1], v[0:1], -0.5, v[56:57]
	v_fma_f64 v[102:103], v[72:73], s[14:15], v[0:1]
	v_fma_f64 v[0:1], v[72:73], s[2:3], v[0:1]
	v_fma_f64 v[92:93], v[80:81], s[6:7], v[102:103]
	v_add_f64 v[102:103], v[58:59], -v[74:75]
	v_fma_f64 v[0:1], v[80:81], s[8:9], v[0:1]
	v_add_f64 v[102:103], v[102:103], v[112:113]
	v_fma_f64 v[112:113], v[102:103], s[4:5], v[92:93]
	v_fma_f64 v[102:103], v[102:103], s[4:5], v[0:1]
	v_add_f64 v[0:1], v[58:59], v[94:95]
	v_add_f64 v[58:59], v[74:75], -v[58:59]
	v_add_f64 v[74:75], v[82:83], -v[94:95]
	v_mul_f64 v[82:83], v[108:109], s[6:7]
	v_add_f64 v[92:93], v[124:125], v[104:105]
	v_add_f64 v[94:95], v[136:137], v[118:119]
	v_add_f64 v[118:119], v[136:137], -v[118:119]
	v_fma_f64 v[0:1], v[0:1], -0.5, v[56:57]
	v_add_f64 v[58:59], v[58:59], v[74:75]
	v_fma_f64 v[148:149], v[112:113], s[20:21], v[82:83]
	v_fma_f64 v[56:57], v[80:81], s[2:3], v[0:1]
	;; [unrolled: 1-line block ×3, first 2 shown]
	v_add_f64 v[82:83], v[122:123], v[148:149]
	v_fma_f64 v[56:57], v[72:73], s[6:7], v[56:57]
	v_fma_f64 v[0:1], v[72:73], s[8:9], v[0:1]
	v_fma_f64 v[74:75], v[58:59], s[4:5], v[56:57]
	v_fma_f64 v[58:59], v[58:59], s[4:5], v[0:1]
	v_mul_f64 v[0:1], v[112:113], s[8:9]
	v_fma_f64 v[140:141], v[108:109], s[20:21], v[0:1]
	v_mul_f64 v[0:1], v[74:75], s[2:3]
	v_add_f64 v[80:81], v[126:127], v[140:141]
	v_fma_f64 v[142:143], v[100:101], s[4:5], v[0:1]
	v_mul_f64 v[0:1], v[2:3], s[22:23]
	v_mul_f64 v[100:101], v[100:101], s[14:15]
	v_add_f64 v[112:113], v[126:127], -v[140:141]
	v_add_f64 v[72:73], v[138:139], v[142:143]
	v_fma_f64 v[144:145], v[58:59], s[2:3], v[0:1]
	v_mul_f64 v[58:59], v[58:59], s[22:23]
	v_mul_f64 v[0:1], v[114:115], s[24:25]
	v_fma_f64 v[150:151], v[74:75], s[4:5], v[100:101]
	v_add_f64 v[108:109], v[138:139], -v[142:143]
	v_add_f64 v[56:57], v[132:133], v[144:145]
	v_fma_f64 v[152:153], v[2:3], s[14:15], v[58:59]
	v_mul_f64 v[2:3], v[102:103], s[24:25]
	v_fma_f64 v[146:147], v[102:103], s[8:9], v[0:1]
	v_add_f64 v[74:75], v[110:111], v[150:151]
	v_add_f64 v[110:111], v[110:111], -v[150:151]
	v_add_f64 v[104:105], v[132:133], -v[144:145]
	v_add_f64 v[58:59], v[106:107], v[152:153]
	v_fma_f64 v[102:103], v[114:115], s[6:7], v[2:3]
	v_add_f64 v[114:115], v[122:123], -v[148:149]
	v_cndmask_b32_e64 v122, 0, 0x2ee, vcc_lo
	v_add_f64 v[0:1], v[128:129], v[146:147]
	v_add_f64 v[106:107], v[106:107], -v[152:153]
	v_add_f64 v[100:101], v[128:129], -v[146:147]
	v_add_lshl_u32 v174, v166, v122, 4
	ds_write_b128 v174, v[20:23]
	ds_write_b128 v174, v[16:19] offset:1200
	ds_write_b128 v174, v[12:15] offset:2400
	;; [unrolled: 1-line block ×9, first 2 shown]
	v_mov_b32_e32 v4, 0x2ee
	v_mul_u32_u24_sdwa v4, v167, v4 dst_sel:DWORD dst_unused:UNUSED_PAD src0_sel:WORD_0 src1_sel:DWORD
	v_add_f64 v[2:3], v[130:131], v[102:103]
	v_add_f64 v[102:103], v[130:131], -v[102:103]
	v_add_lshl_u32 v135, v4, v172, 4
	v_mad_u16 v4, 0x2ee, v175, v184
	ds_write_b128 v135, v[68:71]
	ds_write_b128 v135, v[52:55] offset:1200
	ds_write_b128 v135, v[48:51] offset:2400
	;; [unrolled: 1-line block ×9, first 2 shown]
	v_lshlrev_b32_sdwa v172, v193, v4 dst_sel:DWORD dst_unused:UNUSED_PAD src0_sel:DWORD src1_sel:WORD_0
	ds_write_b128 v172, v[92:95]
	ds_write_b128 v172, v[80:83] offset:1200
	ds_write_b128 v172, v[72:75] offset:2400
	;; [unrolled: 1-line block ×9, first 2 shown]
	v_lshlrev_b32_e32 v116, 6, v219
	s_waitcnt lgkmcnt(0)
	s_barrier
	buffer_gl0_inv
	ds_read_b128 v[20:23], v134
	ds_read_b128 v[4:7], v134 offset:12000
	ds_read_b128 v[8:11], v134 offset:24000
	ds_read_b128 v[108:111], v134 offset:36000
	ds_read_b128 v[112:115], v134 offset:48000
	ds_read_b128 v[16:19], v134 offset:2000
	ds_read_b128 v[100:103], v134 offset:14000
	ds_read_b128 v[96:99], v134 offset:26000
	ds_read_b128 v[92:95], v134 offset:38000
	ds_read_b128 v[88:91], v134 offset:50000
	ds_read_b128 v[0:3], v134 offset:4000
	ds_read_b128 v[84:87], v134 offset:16000
	ds_read_b128 v[80:83], v134 offset:28000
	ds_read_b128 v[76:79], v134 offset:40000
	ds_read_b128 v[12:15], v134 offset:52000
	ds_read_b128 v[104:107], v134 offset:6000
	ds_read_b128 v[68:71], v134 offset:18000
	ds_read_b128 v[64:67], v134 offset:30000
	ds_read_b128 v[60:63], v134 offset:42000
	ds_read_b128 v[56:59], v134 offset:54000
	ds_read_b128 v[122:125], v134 offset:8000
	ds_read_b128 v[52:55], v134 offset:20000
	ds_read_b128 v[48:51], v134 offset:32000
	ds_read_b128 v[44:47], v134 offset:44000
	ds_read_b128 v[40:43], v134 offset:56000
	ds_read_b128 v[72:75], v134 offset:10000
	ds_read_b128 v[36:39], v134 offset:22000
	ds_read_b128 v[32:35], v134 offset:34000
	ds_read_b128 v[28:31], v134 offset:46000
	ds_read_b128 v[24:27], v134 offset:58000
	v_add_co_u32 v118, s26, s10, v116
	v_add_co_ci_u32_e64 v119, null, s11, 0, s26
	v_add_co_u32 v116, vcc_lo, 0x2eb0, v118
	v_add_co_ci_u32_e32 v117, vcc_lo, 0, v119, vcc_lo
	v_add_co_u32 v118, vcc_lo, 0x2800, v118
	v_add_co_ci_u32_e32 v119, vcc_lo, 0, v119, vcc_lo
	s_clause 0x3
	global_load_dwordx4 v[126:129], v[118:119], off offset:1712
	global_load_dwordx4 v[148:151], v[116:117], off offset:48
	;; [unrolled: 1-line block ×4, first 2 shown]
	s_waitcnt vmcnt(3) lgkmcnt(28)
	v_mul_f64 v[116:117], v[6:7], v[128:129]
	v_fma_f64 v[140:141], v[4:5], v[126:127], -v[116:117]
	buffer_store_dword v126, off, s[28:31], 0 offset:1208 ; 4-byte Folded Spill
	buffer_store_dword v127, off, s[28:31], 0 offset:1212 ; 4-byte Folded Spill
	;; [unrolled: 1-line block ×4, first 2 shown]
	s_waitcnt vmcnt(0)
	buffer_store_dword v130, off, s[28:31], 0 offset:1192 ; 4-byte Folded Spill
	buffer_store_dword v131, off, s[28:31], 0 offset:1196 ; 4-byte Folded Spill
	buffer_store_dword v132, off, s[28:31], 0 offset:1200 ; 4-byte Folded Spill
	buffer_store_dword v133, off, s[28:31], 0 offset:1204 ; 4-byte Folded Spill
	buffer_store_dword v136, off, s[28:31], 0 offset:1176 ; 4-byte Folded Spill
	buffer_store_dword v137, off, s[28:31], 0 offset:1180 ; 4-byte Folded Spill
	buffer_store_dword v138, off, s[28:31], 0 offset:1184 ; 4-byte Folded Spill
	buffer_store_dword v139, off, s[28:31], 0 offset:1188 ; 4-byte Folded Spill
	v_mul_f64 v[4:5], v[4:5], v[128:129]
	v_fma_f64 v[128:129], v[6:7], v[126:127], v[4:5]
	s_waitcnt lgkmcnt(27)
	v_mul_f64 v[4:5], v[10:11], v[132:133]
	v_fma_f64 v[142:143], v[8:9], v[130:131], -v[4:5]
	v_mul_f64 v[4:5], v[8:9], v[132:133]
	v_mov_b32_e32 v6, v148
	v_mov_b32_e32 v7, v149
	;; [unrolled: 1-line block ×4, first 2 shown]
	buffer_store_dword v6, off, s[28:31], 0 offset:1160 ; 4-byte Folded Spill
	buffer_store_dword v7, off, s[28:31], 0 offset:1164 ; 4-byte Folded Spill
	buffer_store_dword v8, off, s[28:31], 0 offset:1168 ; 4-byte Folded Spill
	buffer_store_dword v9, off, s[28:31], 0 offset:1172 ; 4-byte Folded Spill
	v_fma_f64 v[132:133], v[10:11], v[130:131], v[4:5]
	s_waitcnt lgkmcnt(26)
	v_mul_f64 v[4:5], v[110:111], v[138:139]
	v_fma_f64 v[146:147], v[108:109], v[136:137], -v[4:5]
	v_mul_f64 v[4:5], v[108:109], v[138:139]
	v_fma_f64 v[136:137], v[110:111], v[136:137], v[4:5]
	s_waitcnt lgkmcnt(25)
	v_mul_f64 v[4:5], v[114:115], v[8:9]
	v_fma_f64 v[150:151], v[112:113], v[6:7], -v[4:5]
	v_mul_f64 v[4:5], v[112:113], v[8:9]
	v_fma_f64 v[138:139], v[114:115], v[6:7], v[4:5]
	v_lshlrev_b32_e32 v4, 6, v168
	v_add_co_u32 v6, s26, s10, v4
	v_add_co_ci_u32_e64 v7, null, s11, 0, s26
	v_add_co_u32 v4, vcc_lo, 0x2eb0, v6
	v_add_co_ci_u32_e32 v5, vcc_lo, 0, v7, vcc_lo
	v_add_co_u32 v6, vcc_lo, 0x2800, v6
	v_add_co_ci_u32_e32 v7, vcc_lo, 0, v7, vcc_lo
	s_clause 0x3
	global_load_dwordx4 v[152:155], v[6:7], off offset:1712
	global_load_dwordx4 v[8:11], v[4:5], off offset:48
	;; [unrolled: 1-line block ×4, first 2 shown]
	s_waitcnt vmcnt(3)
	buffer_store_dword v152, off, s[28:31], 0 offset:1432 ; 4-byte Folded Spill
	buffer_store_dword v153, off, s[28:31], 0 offset:1436 ; 4-byte Folded Spill
	;; [unrolled: 1-line block ×4, first 2 shown]
	s_waitcnt vmcnt(0)
	buffer_store_dword v114, off, s[28:31], 0 offset:1448 ; 4-byte Folded Spill
	buffer_store_dword v115, off, s[28:31], 0 offset:1452 ; 4-byte Folded Spill
	;; [unrolled: 1-line block ×4, first 2 shown]
	s_waitcnt lgkmcnt(23)
	v_mul_f64 v[4:5], v[102:103], v[154:155]
	v_fma_f64 v[130:131], v[100:101], v[152:153], -v[4:5]
	v_mul_f64 v[4:5], v[100:101], v[154:155]
	v_fma_f64 v[100:101], v[102:103], v[152:153], v[4:5]
	s_waitcnt lgkmcnt(22)
	v_mul_f64 v[4:5], v[98:99], v[116:117]
	v_fma_f64 v[112:113], v[96:97], v[114:115], -v[4:5]
	v_mul_f64 v[4:5], v[96:97], v[116:117]
	v_fma_f64 v[96:97], v[98:99], v[114:115], v[4:5]
	s_waitcnt lgkmcnt(21)
	v_mul_f64 v[4:5], v[94:95], v[110:111]
	v_fma_f64 v[4:5], v[92:93], v[108:109], -v[4:5]
	buffer_store_dword v108, off, s[28:31], 0 offset:1416 ; 4-byte Folded Spill
	buffer_store_dword v109, off, s[28:31], 0 offset:1420 ; 4-byte Folded Spill
	;; [unrolled: 1-line block ×8, first 2 shown]
	v_mul_f64 v[6:7], v[92:93], v[110:111]
	v_fma_f64 v[92:93], v[94:95], v[108:109], v[6:7]
	s_waitcnt lgkmcnt(20)
	v_mul_f64 v[6:7], v[90:91], v[10:11]
	v_fma_f64 v[94:95], v[88:89], v[8:9], -v[6:7]
	v_mul_f64 v[6:7], v[88:89], v[10:11]
	v_fma_f64 v[90:91], v[90:91], v[8:9], v[6:7]
	v_lshlrev_b32_e32 v6, 6, v169
	v_add_co_u32 v8, s26, s10, v6
	v_add_co_ci_u32_e64 v9, null, s11, 0, s26
	v_add_co_u32 v6, vcc_lo, 0x2eb0, v8
	v_add_co_ci_u32_e32 v7, vcc_lo, 0, v9, vcc_lo
	v_add_co_u32 v8, vcc_lo, 0x2800, v8
	v_add_co_ci_u32_e32 v9, vcc_lo, 0, v9, vcc_lo
	s_clause 0x1
	global_load_dwordx4 v[156:159], v[8:9], off offset:1712
	global_load_dwordx4 v[114:117], v[6:7], off offset:48
	s_waitcnt vmcnt(0)
	buffer_store_dword v114, off, s[28:31], 0 offset:1692 ; 4-byte Folded Spill
	buffer_store_dword v115, off, s[28:31], 0 offset:1696 ; 4-byte Folded Spill
	;; [unrolled: 1-line block ×4, first 2 shown]
	s_clause 0x1
	global_load_dwordx4 v[152:155], v[6:7], off offset:32
	global_load_dwordx4 v[108:111], v[6:7], off offset:16
	buffer_store_dword v156, off, s[28:31], 0 offset:1676 ; 4-byte Folded Spill
	buffer_store_dword v157, off, s[28:31], 0 offset:1680 ; 4-byte Folded Spill
	;; [unrolled: 1-line block ×4, first 2 shown]
	s_waitcnt vmcnt(0)
	buffer_store_dword v108, off, s[28:31], 0 offset:1724 ; 4-byte Folded Spill
	buffer_store_dword v109, off, s[28:31], 0 offset:1728 ; 4-byte Folded Spill
	;; [unrolled: 1-line block ×8, first 2 shown]
	s_waitcnt lgkmcnt(18)
	v_mul_f64 v[6:7], v[86:87], v[158:159]
	v_fma_f64 v[8:9], v[84:85], v[156:157], -v[6:7]
	v_mul_f64 v[6:7], v[84:85], v[158:159]
	v_fma_f64 v[84:85], v[86:87], v[156:157], v[6:7]
	s_waitcnt lgkmcnt(17)
	v_mul_f64 v[6:7], v[82:83], v[110:111]
	v_fma_f64 v[88:89], v[80:81], v[108:109], -v[6:7]
	v_mul_f64 v[6:7], v[80:81], v[110:111]
	v_fma_f64 v[80:81], v[82:83], v[108:109], v[6:7]
	;; [unrolled: 5-line block ×4, first 2 shown]
	v_lshlrev_b32_e32 v6, 6, v170
	v_add_co_u32 v10, s26, s10, v6
	v_add_co_ci_u32_e64 v11, null, s11, 0, s26
	v_add_co_u32 v6, vcc_lo, 0x2eb0, v10
	v_add_co_ci_u32_e32 v7, vcc_lo, 0, v11, vcc_lo
	v_add_co_u32 v10, vcc_lo, 0x2800, v10
	v_add_co_ci_u32_e32 v11, vcc_lo, 0, v11, vcc_lo
	s_clause 0x1
	global_load_dwordx4 v[236:239], v[10:11], off offset:1712
	global_load_dwordx4 v[114:117], v[6:7], off offset:48
	s_waitcnt vmcnt(0)
	buffer_store_dword v114, off, s[28:31], 0 offset:1808 ; 4-byte Folded Spill
	buffer_store_dword v115, off, s[28:31], 0 offset:1812 ; 4-byte Folded Spill
	;; [unrolled: 1-line block ×4, first 2 shown]
	s_clause 0x1
	global_load_dwordx4 v[244:247], v[6:7], off offset:32
	global_load_dwordx4 v[240:243], v[6:7], off offset:16
	s_waitcnt lgkmcnt(13)
	v_mul_f64 v[6:7], v[70:71], v[238:239]
	v_fma_f64 v[14:15], v[68:69], v[236:237], -v[6:7]
	v_mul_f64 v[6:7], v[68:69], v[238:239]
	v_fma_f64 v[68:69], v[70:71], v[236:237], v[6:7]
	s_waitcnt vmcnt(0) lgkmcnt(12)
	v_mul_f64 v[6:7], v[66:67], v[242:243]
	v_fma_f64 v[10:11], v[64:65], v[240:241], -v[6:7]
	v_mul_f64 v[6:7], v[64:65], v[242:243]
	v_fma_f64 v[64:65], v[66:67], v[240:241], v[6:7]
	s_waitcnt lgkmcnt(11)
	v_mul_f64 v[6:7], v[62:63], v[246:247]
	v_fma_f64 v[102:103], v[60:61], v[244:245], -v[6:7]
	v_mul_f64 v[6:7], v[60:61], v[246:247]
	v_fma_f64 v[60:61], v[62:63], v[244:245], v[6:7]
	s_waitcnt lgkmcnt(10)
	v_mul_f64 v[6:7], v[58:59], v[116:117]
	v_fma_f64 v[12:13], v[56:57], v[114:115], -v[6:7]
	v_mul_f64 v[6:7], v[56:57], v[116:117]
	v_lshlrev_b32_e32 v56, 6, v171
	v_fma_f64 v[6:7], v[58:59], v[114:115], v[6:7]
	v_add_co_u32 v58, s26, s10, v56
	v_add_co_ci_u32_e64 v59, null, s11, 0, s26
	v_add_co_u32 v56, vcc_lo, 0x2eb0, v58
	v_add_co_ci_u32_e32 v57, vcc_lo, 0, v59, vcc_lo
	v_add_co_u32 v58, vcc_lo, 0x2800, v58
	v_add_co_ci_u32_e32 v59, vcc_lo, 0, v59, vcc_lo
	s_clause 0x3
	global_load_dwordx4 v[216:219], v[58:59], off offset:1712
	global_load_dwordx4 v[228:231], v[56:57], off offset:48
	;; [unrolled: 1-line block ×4, first 2 shown]
	s_waitcnt vmcnt(3) lgkmcnt(8)
	v_mul_f64 v[56:57], v[54:55], v[218:219]
	v_fma_f64 v[56:57], v[52:53], v[216:217], -v[56:57]
	v_mul_f64 v[52:53], v[52:53], v[218:219]
	v_fma_f64 v[118:119], v[54:55], v[216:217], v[52:53]
	s_waitcnt vmcnt(0) lgkmcnt(7)
	v_mul_f64 v[52:53], v[50:51], v[222:223]
	v_fma_f64 v[52:53], v[48:49], v[220:221], -v[52:53]
	v_mul_f64 v[48:49], v[48:49], v[222:223]
	v_fma_f64 v[48:49], v[50:51], v[220:221], v[48:49]
	s_waitcnt lgkmcnt(6)
	v_mul_f64 v[50:51], v[46:47], v[226:227]
	v_fma_f64 v[58:59], v[44:45], v[224:225], -v[50:51]
	v_mul_f64 v[44:45], v[44:45], v[226:227]
	v_fma_f64 v[44:45], v[46:47], v[224:225], v[44:45]
	s_waitcnt lgkmcnt(5)
	v_mul_f64 v[46:47], v[42:43], v[230:231]
	v_fma_f64 v[70:71], v[40:41], v[228:229], -v[46:47]
	v_mul_f64 v[40:41], v[40:41], v[230:231]
	v_fma_f64 v[126:127], v[42:43], v[228:229], v[40:41]
	v_lshlrev_b32_e32 v40, 6, v192
	v_add_co_u32 v42, s10, s10, v40
	v_add_co_ci_u32_e64 v43, null, s11, 0, s10
	v_add_co_u32 v40, vcc_lo, 0x2eb0, v42
	v_add_co_ci_u32_e32 v41, vcc_lo, 0, v43, vcc_lo
	v_add_co_u32 v42, vcc_lo, 0x2800, v42
	v_add_co_ci_u32_e32 v43, vcc_lo, 0, v43, vcc_lo
	s_clause 0x3
	global_load_dwordx4 v[184:187], v[42:43], off offset:1712
	global_load_dwordx4 v[212:215], v[40:41], off offset:48
	;; [unrolled: 1-line block ×4, first 2 shown]
	v_add_f64 v[42:43], v[52:53], -v[58:59]
	s_waitcnt vmcnt(3) lgkmcnt(3)
	v_mul_f64 v[40:41], v[38:39], v[186:187]
	v_fma_f64 v[46:47], v[36:37], v[184:185], -v[40:41]
	v_mul_f64 v[36:37], v[36:37], v[186:187]
	v_fma_f64 v[54:55], v[38:39], v[184:185], v[36:37]
	s_waitcnt vmcnt(0) lgkmcnt(2)
	v_mul_f64 v[36:37], v[34:35], v[194:195]
	v_fma_f64 v[114:115], v[32:33], v[192:193], -v[36:37]
	v_mul_f64 v[32:33], v[32:33], v[194:195]
	v_fma_f64 v[66:67], v[34:35], v[192:193], v[32:33]
	s_waitcnt lgkmcnt(1)
	v_mul_f64 v[32:33], v[30:31], v[210:211]
	v_add_f64 v[34:35], v[150:151], -v[146:147]
	v_fma_f64 v[116:117], v[28:29], v[208:209], -v[32:33]
	v_mul_f64 v[28:29], v[28:29], v[210:211]
	v_add_f64 v[32:33], v[140:141], -v[142:143]
	v_fma_f64 v[62:63], v[30:31], v[208:209], v[28:29]
	s_waitcnt lgkmcnt(0)
	v_mul_f64 v[28:29], v[26:27], v[214:215]
	v_add_f64 v[30:31], v[132:133], -v[136:137]
	v_add_f64 v[32:33], v[32:33], v[34:35]
	v_fma_f64 v[40:41], v[24:25], v[212:213], -v[28:29]
	v_mul_f64 v[24:25], v[24:25], v[214:215]
	v_fma_f64 v[50:51], v[26:27], v[212:213], v[24:25]
	v_add_f64 v[24:25], v[20:21], v[140:141]
	v_add_f64 v[26:27], v[128:129], -v[138:139]
	v_add_f64 v[24:25], v[24:25], v[142:143]
	v_add_f64 v[24:25], v[24:25], v[146:147]
	;; [unrolled: 1-line block ×4, first 2 shown]
	v_fma_f64 v[24:25], v[24:25], -0.5, v[20:21]
	v_fma_f64 v[28:29], v[26:27], s[2:3], v[24:25]
	v_fma_f64 v[24:25], v[26:27], s[14:15], v[24:25]
	;; [unrolled: 1-line block ×6, first 2 shown]
	v_add_f64 v[24:25], v[140:141], v[150:151]
	v_add_f64 v[28:29], v[142:143], -v[140:141]
	v_add_f64 v[32:33], v[146:147], -v[150:151]
	v_fma_f64 v[20:21], v[24:25], -0.5, v[20:21]
	v_add_f64 v[28:29], v[28:29], v[32:33]
	v_add_f64 v[32:33], v[138:139], -v[136:137]
	v_fma_f64 v[24:25], v[30:31], s[14:15], v[20:21]
	v_fma_f64 v[20:21], v[30:31], s[2:3], v[20:21]
	v_add_f64 v[30:31], v[128:129], -v[132:133]
	v_fma_f64 v[24:25], v[26:27], s[8:9], v[24:25]
	v_fma_f64 v[20:21], v[26:27], s[6:7], v[20:21]
	v_add_f64 v[30:31], v[30:31], v[32:33]
	v_fma_f64 v[152:153], v[28:29], s[4:5], v[24:25]
	v_fma_f64 v[156:157], v[28:29], s[4:5], v[20:21]
	v_add_f64 v[20:21], v[22:23], v[128:129]
	v_add_f64 v[24:25], v[140:141], -v[150:151]
	v_add_f64 v[28:29], v[142:143], -v[146:147]
	v_add_f64 v[20:21], v[20:21], v[132:133]
	v_add_f64 v[20:21], v[20:21], v[136:137]
	;; [unrolled: 1-line block ×4, first 2 shown]
	v_fma_f64 v[20:21], v[20:21], -0.5, v[22:23]
	v_fma_f64 v[26:27], v[24:25], s[14:15], v[20:21]
	v_fma_f64 v[20:21], v[24:25], s[2:3], v[20:21]
	;; [unrolled: 1-line block ×6, first 2 shown]
	v_add_f64 v[20:21], v[128:129], v[138:139]
	v_add_f64 v[26:27], v[132:133], -v[128:129]
	v_add_f64 v[30:31], v[136:137], -v[138:139]
	v_fma_f64 v[20:21], v[20:21], -0.5, v[22:23]
	v_add_f64 v[26:27], v[26:27], v[30:31]
	v_add_f64 v[30:31], v[94:95], -v[4:5]
	v_fma_f64 v[22:23], v[28:29], s[2:3], v[20:21]
	v_fma_f64 v[20:21], v[28:29], s[14:15], v[20:21]
	v_add_f64 v[28:29], v[130:131], -v[112:113]
	v_fma_f64 v[22:23], v[24:25], s[6:7], v[22:23]
	v_fma_f64 v[20:21], v[24:25], s[8:9], v[20:21]
	v_add_f64 v[28:29], v[28:29], v[30:31]
	v_fma_f64 v[154:155], v[26:27], s[4:5], v[22:23]
	v_fma_f64 v[158:159], v[26:27], s[4:5], v[20:21]
	v_add_f64 v[20:21], v[16:17], v[130:131]
	v_add_f64 v[22:23], v[100:101], -v[90:91]
	v_add_f64 v[26:27], v[96:97], -v[92:93]
	v_add_f64 v[20:21], v[20:21], v[112:113]
	v_add_f64 v[20:21], v[20:21], v[4:5]
	;; [unrolled: 1-line block ×4, first 2 shown]
	v_fma_f64 v[20:21], v[20:21], -0.5, v[16:17]
	v_fma_f64 v[24:25], v[22:23], s[2:3], v[20:21]
	v_fma_f64 v[20:21], v[22:23], s[14:15], v[20:21]
	;; [unrolled: 1-line block ×6, first 2 shown]
	v_add_f64 v[20:21], v[130:131], v[94:95]
	v_add_f64 v[24:25], v[112:113], -v[130:131]
	v_add_f64 v[28:29], v[4:5], -v[94:95]
	;; [unrolled: 1-line block ×3, first 2 shown]
	v_fma_f64 v[16:17], v[20:21], -0.5, v[16:17]
	v_add_f64 v[24:25], v[24:25], v[28:29]
	v_fma_f64 v[20:21], v[26:27], s[14:15], v[16:17]
	v_fma_f64 v[16:17], v[26:27], s[2:3], v[16:17]
	v_add_f64 v[26:27], v[90:91], -v[92:93]
	v_fma_f64 v[20:21], v[22:23], s[8:9], v[20:21]
	v_fma_f64 v[16:17], v[22:23], s[6:7], v[16:17]
	v_fma_f64 v[136:137], v[24:25], s[4:5], v[20:21]
	v_fma_f64 v[140:141], v[24:25], s[4:5], v[16:17]
	v_add_f64 v[16:17], v[18:19], v[100:101]
	v_add_f64 v[20:21], v[130:131], -v[94:95]
	v_add_f64 v[24:25], v[100:101], -v[96:97]
	v_add_f64 v[16:17], v[16:17], v[96:97]
	v_add_f64 v[24:25], v[24:25], v[26:27]
	;; [unrolled: 1-line block ×5, first 2 shown]
	v_fma_f64 v[16:17], v[16:17], -0.5, v[18:19]
	v_fma_f64 v[22:23], v[20:21], s[14:15], v[16:17]
	v_fma_f64 v[16:17], v[20:21], s[2:3], v[16:17]
	;; [unrolled: 1-line block ×6, first 2 shown]
	v_add_f64 v[16:17], v[100:101], v[90:91]
	v_add_f64 v[22:23], v[96:97], -v[100:101]
	v_add_f64 v[24:25], v[92:93], -v[90:91]
	v_fma_f64 v[16:17], v[16:17], -0.5, v[18:19]
	v_add_f64 v[22:23], v[22:23], v[24:25]
	v_add_f64 v[24:25], v[78:79], -v[110:111]
	v_fma_f64 v[18:19], v[4:5], s[2:3], v[16:17]
	v_fma_f64 v[4:5], v[4:5], s[14:15], v[16:17]
	v_add_f64 v[16:17], v[84:85], -v[108:109]
	v_fma_f64 v[18:19], v[20:21], s[6:7], v[18:19]
	v_fma_f64 v[4:5], v[20:21], s[8:9], v[4:5]
	;; [unrolled: 3-line block ×3, first 2 shown]
	v_add_f64 v[4:5], v[0:1], v[8:9]
	v_add_f64 v[22:23], v[8:9], -v[88:89]
	v_add_f64 v[4:5], v[4:5], v[88:89]
	v_add_f64 v[22:23], v[22:23], v[24:25]
	;; [unrolled: 1-line block ×5, first 2 shown]
	v_fma_f64 v[4:5], v[4:5], -0.5, v[0:1]
	v_fma_f64 v[18:19], v[16:17], s[2:3], v[4:5]
	v_fma_f64 v[4:5], v[16:17], s[14:15], v[4:5]
	v_fma_f64 v[18:19], v[20:21], s[8:9], v[18:19]
	v_fma_f64 v[4:5], v[20:21], s[6:7], v[4:5]
	v_fma_f64 v[76:77], v[22:23], s[4:5], v[18:19]
	v_fma_f64 v[86:87], v[22:23], s[4:5], v[4:5]
	v_add_f64 v[4:5], v[8:9], v[78:79]
	v_add_f64 v[18:19], v[88:89], -v[8:9]
	v_add_f64 v[22:23], v[110:111], -v[78:79]
	v_fma_f64 v[0:1], v[4:5], -0.5, v[0:1]
	v_add_f64 v[18:19], v[18:19], v[22:23]
	v_fma_f64 v[4:5], v[20:21], s[14:15], v[0:1]
	v_fma_f64 v[0:1], v[20:21], s[2:3], v[0:1]
	v_add_f64 v[20:21], v[108:109], -v[82:83]
	v_fma_f64 v[4:5], v[16:17], s[8:9], v[4:5]
	v_fma_f64 v[0:1], v[16:17], s[6:7], v[0:1]
	v_add_f64 v[16:17], v[88:89], -v[110:111]
	v_fma_f64 v[90:91], v[18:19], s[4:5], v[4:5]
	v_fma_f64 v[94:95], v[18:19], s[4:5], v[0:1]
	v_add_f64 v[0:1], v[2:3], v[84:85]
	v_add_f64 v[4:5], v[8:9], -v[78:79]
	v_add_f64 v[18:19], v[84:85], -v[80:81]
	v_add_f64 v[0:1], v[0:1], v[80:81]
	v_add_f64 v[18:19], v[18:19], v[20:21]
	v_add_f64 v[0:1], v[0:1], v[82:83]
	v_add_f64 v[100:101], v[0:1], v[108:109]
	v_add_f64 v[0:1], v[80:81], v[82:83]
	v_fma_f64 v[0:1], v[0:1], -0.5, v[2:3]
	v_fma_f64 v[8:9], v[4:5], s[14:15], v[0:1]
	v_fma_f64 v[0:1], v[4:5], s[2:3], v[0:1]
	;; [unrolled: 1-line block ×6, first 2 shown]
	v_add_f64 v[0:1], v[84:85], v[108:109]
	v_add_f64 v[8:9], v[80:81], -v[84:85]
	v_add_f64 v[18:19], v[82:83], -v[108:109]
	v_fma_f64 v[0:1], v[0:1], -0.5, v[2:3]
	v_add_f64 v[8:9], v[8:9], v[18:19]
	v_add_f64 v[18:19], v[12:13], -v[102:103]
	v_fma_f64 v[2:3], v[16:17], s[2:3], v[0:1]
	v_fma_f64 v[0:1], v[16:17], s[14:15], v[0:1]
	v_add_f64 v[16:17], v[14:15], -v[10:11]
	v_fma_f64 v[2:3], v[4:5], s[6:7], v[2:3]
	v_fma_f64 v[0:1], v[4:5], s[8:9], v[0:1]
	v_add_f64 v[16:17], v[16:17], v[18:19]
	v_add_f64 v[18:19], v[102:103], -v[12:13]
	v_fma_f64 v[92:93], v[8:9], s[4:5], v[2:3]
	v_fma_f64 v[96:97], v[8:9], s[4:5], v[0:1]
	v_add_f64 v[0:1], v[104:105], v[14:15]
	v_add_f64 v[2:3], v[68:69], -v[6:7]
	v_add_f64 v[8:9], v[64:65], -v[60:61]
	v_add_f64 v[0:1], v[0:1], v[10:11]
	v_add_f64 v[0:1], v[0:1], v[102:103]
	;; [unrolled: 1-line block ×4, first 2 shown]
	v_fma_f64 v[0:1], v[0:1], -0.5, v[104:105]
	v_fma_f64 v[4:5], v[2:3], s[2:3], v[0:1]
	v_fma_f64 v[0:1], v[2:3], s[14:15], v[0:1]
	;; [unrolled: 1-line block ×6, first 2 shown]
	v_add_f64 v[0:1], v[14:15], v[12:13]
	v_add_f64 v[16:17], v[10:11], -v[14:15]
	v_fma_f64 v[0:1], v[0:1], -0.5, v[104:105]
	v_add_f64 v[16:17], v[16:17], v[18:19]
	v_fma_f64 v[4:5], v[8:9], s[14:15], v[0:1]
	v_fma_f64 v[0:1], v[8:9], s[2:3], v[0:1]
	v_add_f64 v[8:9], v[10:11], -v[102:103]
	v_add_f64 v[10:11], v[68:69], -v[64:65]
	v_fma_f64 v[4:5], v[2:3], s[8:9], v[4:5]
	v_fma_f64 v[0:1], v[2:3], s[6:7], v[0:1]
	v_add_f64 v[2:3], v[14:15], -v[12:13]
	v_add_f64 v[12:13], v[6:7], -v[60:61]
	;; [unrolled: 1-line block ×3, first 2 shown]
	v_fma_f64 v[20:21], v[16:17], s[4:5], v[4:5]
	v_fma_f64 v[24:25], v[16:17], s[4:5], v[0:1]
	v_add_f64 v[0:1], v[106:107], v[68:69]
	v_add_f64 v[10:11], v[10:11], v[12:13]
	;; [unrolled: 1-line block ×6, first 2 shown]
	v_fma_f64 v[0:1], v[0:1], -0.5, v[106:107]
	v_fma_f64 v[4:5], v[2:3], s[14:15], v[0:1]
	v_fma_f64 v[0:1], v[2:3], s[2:3], v[0:1]
	;; [unrolled: 1-line block ×6, first 2 shown]
	v_add_f64 v[0:1], v[68:69], v[6:7]
	v_add_f64 v[10:11], v[64:65], -v[68:69]
	v_add_f64 v[6:7], v[60:61], -v[6:7]
	;; [unrolled: 1-line block ×4, first 2 shown]
	v_fma_f64 v[0:1], v[0:1], -0.5, v[106:107]
	v_add_f64 v[6:7], v[10:11], v[6:7]
	v_add_f64 v[10:11], v[70:71], -v[58:59]
	v_fma_f64 v[4:5], v[8:9], s[2:3], v[0:1]
	v_fma_f64 v[0:1], v[8:9], s[14:15], v[0:1]
	v_add_f64 v[8:9], v[56:57], -v[52:53]
	v_fma_f64 v[4:5], v[2:3], s[6:7], v[4:5]
	v_fma_f64 v[0:1], v[2:3], s[8:9], v[0:1]
	v_add_f64 v[2:3], v[118:119], -v[126:127]
	v_add_f64 v[8:9], v[8:9], v[10:11]
	v_add_f64 v[10:11], v[52:53], -v[56:57]
	v_fma_f64 v[22:23], v[6:7], s[4:5], v[4:5]
	v_fma_f64 v[26:27], v[6:7], s[4:5], v[0:1]
	v_add_f64 v[0:1], v[122:123], v[56:57]
	v_add_f64 v[6:7], v[48:49], -v[44:45]
	v_add_f64 v[10:11], v[10:11], v[14:15]
	v_add_f64 v[14:15], v[118:119], -v[48:49]
	v_add_f64 v[0:1], v[0:1], v[52:53]
	v_add_f64 v[0:1], v[0:1], v[58:59]
	;; [unrolled: 1-line block ×4, first 2 shown]
	v_add_f64 v[52:53], v[126:127], -v[44:45]
	v_add_f64 v[58:59], v[66:67], -v[62:63]
	v_fma_f64 v[0:1], v[0:1], -0.5, v[122:123]
	v_add_f64 v[14:15], v[14:15], v[52:53]
	v_fma_f64 v[4:5], v[2:3], s[2:3], v[0:1]
	v_fma_f64 v[0:1], v[2:3], s[14:15], v[0:1]
	;; [unrolled: 1-line block ×6, first 2 shown]
	v_add_f64 v[0:1], v[56:57], v[70:71]
	v_fma_f64 v[8:9], v[0:1], -0.5, v[122:123]
	v_fma_f64 v[0:1], v[6:7], s[14:15], v[8:9]
	v_fma_f64 v[6:7], v[6:7], s[2:3], v[8:9]
	;; [unrolled: 1-line block ×6, first 2 shown]
	v_add_f64 v[2:3], v[124:125], v[118:119]
	v_add_f64 v[10:11], v[56:57], -v[70:71]
	v_add_f64 v[56:57], v[46:47], -v[114:115]
	v_add_f64 v[70:71], v[50:51], -v[62:63]
	v_add_f64 v[2:3], v[2:3], v[48:49]
	v_add_f64 v[60:61], v[56:57], v[60:61]
	;; [unrolled: 1-line block ×5, first 2 shown]
	v_add_f64 v[48:49], v[48:49], -v[118:119]
	v_add_f64 v[44:45], v[44:45], -v[126:127]
	v_fma_f64 v[2:3], v[2:3], -0.5, v[124:125]
	v_add_f64 v[44:45], v[48:49], v[44:45]
	v_fma_f64 v[6:7], v[10:11], s[14:15], v[2:3]
	v_fma_f64 v[2:3], v[10:11], s[2:3], v[2:3]
	;; [unrolled: 1-line block ×6, first 2 shown]
	v_add_f64 v[2:3], v[118:119], v[126:127]
	v_fma_f64 v[52:53], v[2:3], -0.5, v[124:125]
	v_fma_f64 v[2:3], v[42:43], s[2:3], v[52:53]
	v_fma_f64 v[42:43], v[42:43], s[14:15], v[52:53]
	v_add_f64 v[52:53], v[54:55], -v[50:51]
	v_fma_f64 v[2:3], v[10:11], s[6:7], v[2:3]
	v_fma_f64 v[10:11], v[10:11], s[8:9], v[42:43]
	v_add_f64 v[42:43], v[72:73], v[46:47]
	v_fma_f64 v[2:3], v[44:45], s[4:5], v[2:3]
	v_fma_f64 v[10:11], v[44:45], s[4:5], v[10:11]
	v_add_f64 v[44:45], v[114:115], v[116:117]
	v_add_f64 v[42:43], v[42:43], v[114:115]
	v_fma_f64 v[44:45], v[44:45], -0.5, v[72:73]
	v_add_f64 v[42:43], v[42:43], v[116:117]
	v_fma_f64 v[48:49], v[52:53], s[2:3], v[44:45]
	v_fma_f64 v[44:45], v[52:53], s[14:15], v[44:45]
	v_add_f64 v[42:43], v[42:43], v[40:41]
	v_fma_f64 v[48:49], v[58:59], s[8:9], v[48:49]
	v_fma_f64 v[44:45], v[58:59], s[6:7], v[44:45]
	v_fma_f64 v[56:57], v[60:61], s[4:5], v[48:49]
	v_fma_f64 v[68:69], v[60:61], s[4:5], v[44:45]
	v_add_f64 v[44:45], v[46:47], v[40:41]
	v_add_f64 v[60:61], v[114:115], -v[46:47]
	v_add_f64 v[40:41], v[46:47], -v[40:41]
	v_fma_f64 v[44:45], v[44:45], -0.5, v[72:73]
	v_add_f64 v[60:61], v[60:61], v[64:65]
	v_add_f64 v[64:65], v[114:115], -v[116:117]
	v_fma_f64 v[48:49], v[58:59], s[14:15], v[44:45]
	v_fma_f64 v[44:45], v[58:59], s[2:3], v[44:45]
	v_add_f64 v[58:59], v[66:67], v[62:63]
	v_fma_f64 v[48:49], v[52:53], s[8:9], v[48:49]
	v_fma_f64 v[44:45], v[52:53], s[6:7], v[44:45]
	;; [unrolled: 1-line block ×4, first 2 shown]
	v_fma_f64 v[60:61], v[58:59], -0.5, v[74:75]
	v_add_f64 v[58:59], v[54:55], -v[66:67]
	v_add_f64 v[44:45], v[74:75], v[54:55]
	v_fma_f64 v[46:47], v[40:41], s[14:15], v[60:61]
	v_add_f64 v[70:71], v[58:59], v[70:71]
	v_add_f64 v[44:45], v[44:45], v[66:67]
	v_fma_f64 v[46:47], v[64:65], s[6:7], v[46:47]
	v_add_f64 v[44:45], v[44:45], v[62:63]
	v_fma_f64 v[58:59], v[70:71], s[4:5], v[46:47]
	v_fma_f64 v[46:47], v[40:41], s[2:3], v[60:61]
	v_add_f64 v[44:45], v[44:45], v[50:51]
	v_fma_f64 v[46:47], v[64:65], s[8:9], v[46:47]
	v_fma_f64 v[70:71], v[70:71], s[4:5], v[46:47]
	v_add_f64 v[46:47], v[54:55], v[50:51]
	v_add_f64 v[54:55], v[66:67], -v[54:55]
	v_add_f64 v[50:51], v[62:63], -v[50:51]
	v_fma_f64 v[46:47], v[46:47], -0.5, v[74:75]
	v_add_f64 v[54:55], v[54:55], v[50:51]
	v_fma_f64 v[60:61], v[64:65], s[2:3], v[46:47]
	v_fma_f64 v[46:47], v[64:65], s[14:15], v[46:47]
	v_fma_f64 v[60:61], v[40:41], s[6:7], v[60:61]
	v_fma_f64 v[40:41], v[40:41], s[8:9], v[46:47]
	v_fma_f64 v[50:51], v[54:55], s[4:5], v[60:61]
	v_fma_f64 v[54:55], v[54:55], s[4:5], v[40:41]
	ds_write_b128 v134, v[168:171]
	ds_write_b128 v134, v[160:163] offset:12000
	ds_write_b128 v134, v[152:155] offset:24000
	;; [unrolled: 1-line block ×29, first 2 shown]
	v_add_co_u32 v12, vcc_lo, 0xea60, v120
	v_add_co_ci_u32_e32 v13, vcc_lo, 0, v121, vcc_lo
	v_add_co_u32 v4, vcc_lo, 0xe800, v120
	v_add_co_ci_u32_e32 v5, vcc_lo, 0, v121, vcc_lo
	s_waitcnt lgkmcnt(0)
	s_waitcnt_vscnt null, 0x0
	s_barrier
	buffer_gl0_inv
	global_load_dwordx4 v[4:7], v[4:5], off offset:608
	ds_read_b128 v[0:3], v134
	s_waitcnt vmcnt(0) lgkmcnt(0)
	v_mul_f64 v[8:9], v[2:3], v[6:7]
	v_fma_f64 v[8:9], v[0:1], v[4:5], -v[8:9]
	v_mul_f64 v[0:1], v[0:1], v[6:7]
	v_fma_f64 v[10:11], v[2:3], v[4:5], v[0:1]
	v_add_co_u32 v4, vcc_lo, 0x13800, v120
	v_add_co_ci_u32_e32 v5, vcc_lo, 0, v121, vcc_lo
	ds_read_b128 v[0:3], v134 offset:20000
	global_load_dwordx4 v[4:7], v[4:5], off offset:128
	ds_write_b128 v134, v[8:11]
	s_waitcnt vmcnt(0) lgkmcnt(1)
	v_mul_f64 v[8:9], v[2:3], v[6:7]
	v_fma_f64 v[8:9], v[0:1], v[4:5], -v[8:9]
	v_mul_f64 v[0:1], v[0:1], v[6:7]
	v_fma_f64 v[10:11], v[2:3], v[4:5], v[0:1]
	v_add_co_u32 v4, vcc_lo, 0x18000, v120
	v_add_co_ci_u32_e32 v5, vcc_lo, 0, v121, vcc_lo
	ds_read_b128 v[0:3], v134 offset:40000
	global_load_dwordx4 v[4:7], v[4:5], off offset:1696
	ds_write_b128 v134, v[8:11] offset:20000
	s_waitcnt vmcnt(0) lgkmcnt(1)
	v_mul_f64 v[8:9], v[2:3], v[6:7]
	v_fma_f64 v[8:9], v[0:1], v[4:5], -v[8:9]
	v_mul_f64 v[0:1], v[0:1], v[6:7]
	v_fma_f64 v[10:11], v[2:3], v[4:5], v[0:1]
	global_load_dwordx4 v[4:7], v[12:13], off offset:2000
	ds_read_b128 v[0:3], v134 offset:2000
	ds_write_b128 v134, v[8:11] offset:40000
	s_waitcnt vmcnt(0) lgkmcnt(1)
	v_mul_f64 v[8:9], v[2:3], v[6:7]
	v_fma_f64 v[8:9], v[0:1], v[4:5], -v[8:9]
	v_mul_f64 v[0:1], v[0:1], v[6:7]
	v_fma_f64 v[10:11], v[2:3], v[4:5], v[0:1]
	v_add_co_u32 v4, vcc_lo, 0x14000, v120
	v_add_co_ci_u32_e32 v5, vcc_lo, 0, v121, vcc_lo
	ds_read_b128 v[0:3], v134 offset:22000
	global_load_dwordx4 v[4:7], v[4:5], off offset:80
	ds_write_b128 v134, v[8:11] offset:2000
	s_waitcnt vmcnt(0) lgkmcnt(1)
	v_mul_f64 v[8:9], v[2:3], v[6:7]
	v_fma_f64 v[8:9], v[0:1], v[4:5], -v[8:9]
	v_mul_f64 v[0:1], v[0:1], v[6:7]
	v_fma_f64 v[10:11], v[2:3], v[4:5], v[0:1]
	v_add_co_u32 v4, vcc_lo, 0x18800, v120
	v_add_co_ci_u32_e32 v5, vcc_lo, 0, v121, vcc_lo
	ds_read_b128 v[0:3], v134 offset:42000
	global_load_dwordx4 v[4:7], v[4:5], off offset:1648
	ds_write_b128 v134, v[8:11] offset:22000
	s_waitcnt vmcnt(0) lgkmcnt(1)
	v_mul_f64 v[8:9], v[2:3], v[6:7]
	v_fma_f64 v[8:9], v[0:1], v[4:5], -v[8:9]
	v_mul_f64 v[0:1], v[0:1], v[6:7]
	v_fma_f64 v[10:11], v[2:3], v[4:5], v[0:1]
	v_add_co_u32 v4, vcc_lo, 0xf800, v120
	v_add_co_ci_u32_e32 v5, vcc_lo, 0, v121, vcc_lo
	ds_read_b128 v[0:3], v134 offset:4000
	v_add_co_u32 v12, vcc_lo, 0x14800, v120
	global_load_dwordx4 v[4:7], v[4:5], off offset:512
	v_add_co_ci_u32_e32 v13, vcc_lo, 0, v121, vcc_lo
	ds_write_b128 v134, v[8:11] offset:42000
	s_waitcnt vmcnt(0) lgkmcnt(1)
	v_mul_f64 v[8:9], v[2:3], v[6:7]
	v_fma_f64 v[8:9], v[0:1], v[4:5], -v[8:9]
	v_mul_f64 v[0:1], v[0:1], v[6:7]
	v_fma_f64 v[10:11], v[2:3], v[4:5], v[0:1]
	global_load_dwordx4 v[4:7], v[12:13], off offset:32
	ds_read_b128 v[0:3], v134 offset:24000
	ds_write_b128 v134, v[8:11] offset:4000
	s_waitcnt vmcnt(0) lgkmcnt(1)
	v_mul_f64 v[8:9], v[2:3], v[6:7]
	v_fma_f64 v[8:9], v[0:1], v[4:5], -v[8:9]
	v_mul_f64 v[0:1], v[0:1], v[6:7]
	v_fma_f64 v[10:11], v[2:3], v[4:5], v[0:1]
	v_add_co_u32 v4, vcc_lo, 0x19000, v120
	v_add_co_ci_u32_e32 v5, vcc_lo, 0, v121, vcc_lo
	ds_read_b128 v[0:3], v134 offset:44000
	global_load_dwordx4 v[4:7], v[4:5], off offset:1600
	ds_write_b128 v134, v[8:11] offset:24000
	s_waitcnt vmcnt(0) lgkmcnt(1)
	v_mul_f64 v[8:9], v[2:3], v[6:7]
	v_fma_f64 v[8:9], v[0:1], v[4:5], -v[8:9]
	v_mul_f64 v[0:1], v[0:1], v[6:7]
	v_fma_f64 v[10:11], v[2:3], v[4:5], v[0:1]
	v_add_co_u32 v4, vcc_lo, 0x10000, v120
	v_add_co_ci_u32_e32 v5, vcc_lo, 0, v121, vcc_lo
	ds_read_b128 v[0:3], v134 offset:6000
	global_load_dwordx4 v[4:7], v[4:5], off offset:464
	ds_write_b128 v134, v[8:11] offset:44000
	s_waitcnt vmcnt(0) lgkmcnt(1)
	v_mul_f64 v[8:9], v[2:3], v[6:7]
	v_fma_f64 v[8:9], v[0:1], v[4:5], -v[8:9]
	v_mul_f64 v[0:1], v[0:1], v[6:7]
	v_fma_f64 v[10:11], v[2:3], v[4:5], v[0:1]
	global_load_dwordx4 v[4:7], v[12:13], off offset:2032
	ds_read_b128 v[0:3], v134 offset:26000
	ds_write_b128 v134, v[8:11] offset:6000
	s_waitcnt vmcnt(0) lgkmcnt(1)
	v_mul_f64 v[8:9], v[2:3], v[6:7]
	v_fma_f64 v[8:9], v[0:1], v[4:5], -v[8:9]
	v_mul_f64 v[0:1], v[0:1], v[6:7]
	v_fma_f64 v[10:11], v[2:3], v[4:5], v[0:1]
	v_add_co_u32 v4, vcc_lo, 0x19800, v120
	v_add_co_ci_u32_e32 v5, vcc_lo, 0, v121, vcc_lo
	ds_read_b128 v[0:3], v134 offset:46000
	global_load_dwordx4 v[4:7], v[4:5], off offset:1552
	ds_write_b128 v134, v[8:11] offset:26000
	s_waitcnt vmcnt(0) lgkmcnt(1)
	v_mul_f64 v[8:9], v[2:3], v[6:7]
	v_fma_f64 v[8:9], v[0:1], v[4:5], -v[8:9]
	v_mul_f64 v[0:1], v[0:1], v[6:7]
	v_fma_f64 v[10:11], v[2:3], v[4:5], v[0:1]
	v_add_co_u32 v4, vcc_lo, 0x10800, v120
	v_add_co_ci_u32_e32 v5, vcc_lo, 0, v121, vcc_lo
	ds_read_b128 v[0:3], v134 offset:8000
	global_load_dwordx4 v[4:7], v[4:5], off offset:416
	;; [unrolled: 10-line block ×19, first 2 shown]
	ds_write_b128 v134, v[8:11] offset:38000
	s_waitcnt vmcnt(0) lgkmcnt(1)
	v_mul_f64 v[8:9], v[2:3], v[6:7]
	v_fma_f64 v[8:9], v[0:1], v[4:5], -v[8:9]
	v_mul_f64 v[0:1], v[0:1], v[6:7]
	v_fma_f64 v[10:11], v[2:3], v[4:5], v[0:1]
	ds_write_b128 v134, v[8:11] offset:58000
	s_waitcnt lgkmcnt(0)
	s_barrier
	buffer_gl0_inv
	ds_read_b128 v[80:83], v134
	ds_read_b128 v[100:103], v134 offset:20000
	ds_read_b128 v[104:107], v134 offset:40000
	;; [unrolled: 1-line block ×29, first 2 shown]
	s_waitcnt lgkmcnt(28)
	v_add_f64 v[112:113], v[80:81], v[100:101]
	s_waitcnt lgkmcnt(0)
	s_barrier
	buffer_gl0_inv
	v_add_f64 v[116:117], v[112:113], v[104:105]
	v_add_f64 v[112:113], v[100:101], v[104:105]
	v_fma_f64 v[80:81], v[112:113], -0.5, v[80:81]
	v_add_f64 v[112:113], v[102:103], -v[106:107]
	v_fma_f64 v[120:121], v[112:113], s[18:19], v[80:81]
	v_fma_f64 v[124:125], v[112:113], s[16:17], v[80:81]
	v_add_f64 v[80:81], v[82:83], v[102:103]
	v_add_f64 v[118:119], v[80:81], v[106:107]
	;; [unrolled: 1-line block ×3, first 2 shown]
	v_fma_f64 v[80:81], v[80:81], -0.5, v[82:83]
	v_add_f64 v[82:83], v[100:101], -v[104:105]
	v_fma_f64 v[122:123], v[82:83], s[16:17], v[80:81]
	v_fma_f64 v[126:127], v[82:83], s[18:19], v[80:81]
	v_add_f64 v[80:81], v[108:109], v[128:129]
	v_add_f64 v[82:83], v[130:131], -v[138:139]
	v_add_f64 v[104:105], v[80:81], v[136:137]
	v_add_f64 v[80:81], v[128:129], v[136:137]
	v_fma_f64 v[80:81], v[80:81], -0.5, v[108:109]
	v_fma_f64 v[108:109], v[82:83], s[18:19], v[80:81]
	v_fma_f64 v[112:113], v[82:83], s[16:17], v[80:81]
	v_add_f64 v[80:81], v[110:111], v[130:131]
	v_add_f64 v[82:83], v[128:129], -v[136:137]
	v_add_f64 v[106:107], v[80:81], v[138:139]
	v_add_f64 v[80:81], v[130:131], v[138:139]
	v_fma_f64 v[80:81], v[80:81], -0.5, v[110:111]
	v_fma_f64 v[110:111], v[82:83], s[16:17], v[80:81]
	v_fma_f64 v[114:115], v[82:83], s[18:19], v[80:81]
	v_add_f64 v[82:83], v[68:69], v[76:77]
	v_add_f64 v[80:81], v[96:97], v[68:69]
	v_add_f64 v[68:69], v[68:69], -v[76:77]
	v_fma_f64 v[82:83], v[82:83], -0.5, v[96:97]
	v_add_f64 v[96:97], v[70:71], -v[78:79]
	v_add_f64 v[80:81], v[80:81], v[76:77]
	v_add_f64 v[76:77], v[6:7], -v[2:3]
	v_fma_f64 v[100:101], v[96:97], s[18:19], v[82:83]
	v_fma_f64 v[96:97], v[96:97], s[16:17], v[82:83]
	v_add_f64 v[82:83], v[98:99], v[70:71]
	v_add_f64 v[70:71], v[70:71], v[78:79]
	;; [unrolled: 1-line block ×3, first 2 shown]
	v_fma_f64 v[70:71], v[70:71], -0.5, v[98:99]
	v_fma_f64 v[102:103], v[68:69], s[16:17], v[70:71]
	v_fma_f64 v[98:99], v[68:69], s[18:19], v[70:71]
	v_add_f64 v[70:71], v[4:5], v[0:1]
	v_add_f64 v[68:69], v[72:73], v[4:5]
	v_fma_f64 v[70:71], v[70:71], -0.5, v[72:73]
	v_add_f64 v[68:69], v[68:69], v[0:1]
	v_add_f64 v[0:1], v[4:5], -v[0:1]
	v_fma_f64 v[72:73], v[76:77], s[18:19], v[70:71]
	v_fma_f64 v[76:77], v[76:77], s[16:17], v[70:71]
	v_add_f64 v[70:71], v[74:75], v[6:7]
	v_add_f64 v[70:71], v[70:71], v[2:3]
	;; [unrolled: 1-line block ×3, first 2 shown]
	v_add_f64 v[6:7], v[86:87], -v[90:91]
	v_fma_f64 v[2:3], v[2:3], -0.5, v[74:75]
	v_fma_f64 v[74:75], v[0:1], s[16:17], v[2:3]
	v_fma_f64 v[78:79], v[0:1], s[18:19], v[2:3]
	v_add_f64 v[2:3], v[84:85], v[88:89]
	v_add_f64 v[0:1], v[92:93], v[84:85]
	v_add_f64 v[84:85], v[84:85], -v[88:89]
	v_fma_f64 v[2:3], v[2:3], -0.5, v[92:93]
	v_add_f64 v[0:1], v[0:1], v[88:89]
	v_fma_f64 v[4:5], v[6:7], s[18:19], v[2:3]
	v_fma_f64 v[92:93], v[6:7], s[16:17], v[2:3]
	v_add_f64 v[6:7], v[86:87], v[90:91]
	v_add_f64 v[2:3], v[94:95], v[86:87]
	v_fma_f64 v[86:87], v[6:7], -0.5, v[94:95]
	v_add_f64 v[2:3], v[2:3], v[90:91]
	v_fma_f64 v[6:7], v[84:85], s[16:17], v[86:87]
	v_fma_f64 v[94:95], v[84:85], s[18:19], v[86:87]
	v_add_f64 v[84:85], v[56:57], v[48:49]
	v_add_f64 v[86:87], v[50:51], -v[54:55]
	v_add_f64 v[88:89], v[84:85], v[52:53]
	v_add_f64 v[84:85], v[48:49], v[52:53]
	v_add_f64 v[48:49], v[48:49], -v[52:53]
	v_add_f64 v[52:53], v[38:39], -v[42:43]
	v_fma_f64 v[56:57], v[84:85], -0.5, v[56:57]
	v_fma_f64 v[84:85], v[86:87], s[18:19], v[56:57]
	v_fma_f64 v[56:57], v[86:87], s[16:17], v[56:57]
	v_add_f64 v[86:87], v[58:59], v[50:51]
	v_add_f64 v[50:51], v[50:51], v[54:55]
	;; [unrolled: 1-line block ×3, first 2 shown]
	v_fma_f64 v[50:51], v[50:51], -0.5, v[58:59]
	v_fma_f64 v[86:87], v[48:49], s[16:17], v[50:51]
	v_fma_f64 v[58:59], v[48:49], s[18:19], v[50:51]
	v_add_f64 v[50:51], v[36:37], v[40:41]
	v_add_f64 v[48:49], v[44:45], v[36:37]
	v_add_f64 v[36:37], v[36:37], -v[40:41]
	v_fma_f64 v[50:51], v[50:51], -0.5, v[44:45]
	v_add_f64 v[48:49], v[48:49], v[40:41]
	v_add_f64 v[40:41], v[26:27], -v[30:31]
	v_fma_f64 v[44:45], v[52:53], s[18:19], v[50:51]
	v_fma_f64 v[52:53], v[52:53], s[16:17], v[50:51]
	v_add_f64 v[50:51], v[46:47], v[38:39]
	v_add_f64 v[38:39], v[38:39], v[42:43]
	;; [unrolled: 1-line block ×3, first 2 shown]
	v_fma_f64 v[38:39], v[38:39], -0.5, v[46:47]
	v_fma_f64 v[46:47], v[36:37], s[16:17], v[38:39]
	v_fma_f64 v[54:55], v[36:37], s[18:19], v[38:39]
	v_add_f64 v[38:39], v[24:25], v[28:29]
	v_add_f64 v[36:37], v[32:33], v[24:25]
	v_add_f64 v[24:25], v[24:25], -v[28:29]
	v_fma_f64 v[38:39], v[38:39], -0.5, v[32:33]
	v_add_f64 v[36:37], v[36:37], v[28:29]
	v_fma_f64 v[32:33], v[40:41], s[18:19], v[38:39]
	v_fma_f64 v[40:41], v[40:41], s[16:17], v[38:39]
	v_add_f64 v[38:39], v[34:35], v[26:27]
	v_add_f64 v[26:27], v[26:27], v[30:31]
	;; [unrolled: 1-line block ×3, first 2 shown]
	v_fma_f64 v[26:27], v[26:27], -0.5, v[34:35]
	v_add_f64 v[30:31], v[14:15], -v[18:19]
	v_fma_f64 v[34:35], v[24:25], s[16:17], v[26:27]
	v_fma_f64 v[42:43], v[24:25], s[18:19], v[26:27]
	v_add_f64 v[26:27], v[12:13], v[16:17]
	v_add_f64 v[24:25], v[60:61], v[12:13]
	v_add_f64 v[12:13], v[12:13], -v[16:17]
	v_fma_f64 v[26:27], v[26:27], -0.5, v[60:61]
	v_add_f64 v[24:25], v[24:25], v[16:17]
	v_fma_f64 v[28:29], v[30:31], s[18:19], v[26:27]
	v_fma_f64 v[60:61], v[30:31], s[16:17], v[26:27]
	v_add_f64 v[26:27], v[62:63], v[14:15]
	v_add_f64 v[14:15], v[14:15], v[18:19]
	;; [unrolled: 1-line block ×3, first 2 shown]
	v_fma_f64 v[14:15], v[14:15], -0.5, v[62:63]
	v_add_f64 v[18:19], v[22:23], -v[10:11]
	v_fma_f64 v[30:31], v[12:13], s[16:17], v[14:15]
	v_fma_f64 v[62:63], v[12:13], s[18:19], v[14:15]
	v_add_f64 v[14:15], v[20:21], v[8:9]
	v_add_f64 v[12:13], v[64:65], v[20:21]
	v_fma_f64 v[14:15], v[14:15], -0.5, v[64:65]
	v_add_f64 v[12:13], v[12:13], v[8:9]
	v_add_f64 v[8:9], v[20:21], -v[8:9]
	v_fma_f64 v[16:17], v[18:19], s[18:19], v[14:15]
	v_fma_f64 v[64:65], v[18:19], s[16:17], v[14:15]
	v_add_f64 v[14:15], v[66:67], v[22:23]
	v_add_f64 v[14:15], v[14:15], v[10:11]
	v_add_f64 v[10:11], v[22:23], v[10:11]
	v_fma_f64 v[10:11], v[10:11], -0.5, v[66:67]
	v_fma_f64 v[18:19], v[8:9], s[16:17], v[10:11]
	v_fma_f64 v[66:67], v[8:9], s[18:19], v[10:11]
	buffer_load_dword v8, off, s[28:31], 0 offset:532 ; 4-byte Folded Reload
	s_waitcnt vmcnt(0)
	ds_write_b128 v8, v[116:119]
	ds_write_b128 v8, v[120:123] offset:16
	ds_write_b128 v8, v[124:127] offset:32
	buffer_load_dword v8, off, s[28:31], 0 offset:516 ; 4-byte Folded Reload
	s_waitcnt vmcnt(0)
	ds_write_b128 v8, v[104:107]
	ds_write_b128 v8, v[108:111] offset:16
	ds_write_b128 v8, v[112:115] offset:32
	;; [unrolled: 5-line block ×10, first 2 shown]
	s_waitcnt lgkmcnt(0)
	s_barrier
	buffer_gl0_inv
	ds_read_b128 v[4:7], v134
	ds_read_b128 v[8:11], v134 offset:12000
	ds_read_b128 v[16:19], v134 offset:24000
	;; [unrolled: 1-line block ×29, first 2 shown]
	s_clause 0x3
	buffer_load_dword v122, off, s[28:31], 0 offset:584
	buffer_load_dword v123, off, s[28:31], 0 offset:588
	buffer_load_dword v124, off, s[28:31], 0 offset:592
	buffer_load_dword v125, off, s[28:31], 0 offset:596
	s_waitcnt vmcnt(0) lgkmcnt(28)
	v_mul_f64 v[120:121], v[124:125], v[10:11]
	v_fma_f64 v[120:121], v[122:123], v[8:9], v[120:121]
	v_mul_f64 v[8:9], v[124:125], v[8:9]
	v_fma_f64 v[8:9], v[122:123], v[10:11], -v[8:9]
	s_clause 0x3
	buffer_load_dword v122, off, s[28:31], 0 offset:568
	buffer_load_dword v123, off, s[28:31], 0 offset:572
	buffer_load_dword v124, off, s[28:31], 0 offset:576
	buffer_load_dword v125, off, s[28:31], 0 offset:580
	s_waitcnt vmcnt(0) lgkmcnt(27)
	v_mul_f64 v[10:11], v[124:125], v[18:19]
	v_fma_f64 v[10:11], v[122:123], v[16:17], v[10:11]
	v_mul_f64 v[16:17], v[124:125], v[16:17]
	v_fma_f64 v[16:17], v[122:123], v[18:19], -v[16:17]
	;; [unrolled: 10-line block ×5, first 2 shown]
	s_clause 0x7
	buffer_load_dword v122, off, s[28:31], 0 offset:960
	buffer_load_dword v123, off, s[28:31], 0 offset:964
	;; [unrolled: 1-line block ×8, first 2 shown]
	s_waitcnt vmcnt(4) lgkmcnt(22)
	v_mul_f64 v[34:35], v[124:125], v[38:39]
	v_fma_f64 v[34:35], v[122:123], v[36:37], v[34:35]
	v_mul_f64 v[36:37], v[124:125], v[36:37]
	v_fma_f64 v[122:123], v[122:123], v[38:39], -v[36:37]
	s_waitcnt vmcnt(0) lgkmcnt(21)
	v_mul_f64 v[36:37], v[128:129], v[42:43]
	v_fma_f64 v[124:125], v[126:127], v[40:41], v[36:37]
	v_mul_f64 v[36:37], v[128:129], v[40:41]
	s_clause 0x3
	buffer_load_dword v38, off, s[28:31], 0 offset:976
	buffer_load_dword v39, off, s[28:31], 0 offset:980
	;; [unrolled: 1-line block ×4, first 2 shown]
	v_fma_f64 v[126:127], v[126:127], v[42:43], -v[36:37]
	s_waitcnt vmcnt(0) lgkmcnt(20)
	v_mul_f64 v[36:37], v[40:41], v[54:55]
	v_fma_f64 v[42:43], v[38:39], v[52:53], v[36:37]
	v_mul_f64 v[36:37], v[40:41], v[52:53]
	v_fma_f64 v[52:53], v[38:39], v[54:55], -v[36:37]
	s_clause 0x3
	buffer_load_dword v38, off, s[28:31], 0 offset:1224
	buffer_load_dword v39, off, s[28:31], 0 offset:1228
	buffer_load_dword v40, off, s[28:31], 0 offset:1232
	buffer_load_dword v41, off, s[28:31], 0 offset:1236
	s_waitcnt vmcnt(0) lgkmcnt(18)
	v_mul_f64 v[36:37], v[40:41], v[58:59]
	v_fma_f64 v[54:55], v[38:39], v[56:57], v[36:37]
	v_mul_f64 v[36:37], v[40:41], v[56:57]
	v_fma_f64 v[56:57], v[38:39], v[58:59], -v[36:37]
	s_clause 0x3
	buffer_load_dword v38, off, s[28:31], 0 offset:1256
	buffer_load_dword v39, off, s[28:31], 0 offset:1260
	buffer_load_dword v40, off, s[28:31], 0 offset:1264
	buffer_load_dword v41, off, s[28:31], 0 offset:1268
	;; [unrolled: 10-line block ×7, first 2 shown]
	s_waitcnt vmcnt(0) lgkmcnt(11)
	v_mul_f64 v[36:37], v[40:41], v[82:83]
	v_fma_f64 v[144:145], v[38:39], v[80:81], v[36:37]
	v_mul_f64 v[36:37], v[40:41], v[80:81]
	v_add_f64 v[80:81], v[16:17], -v[20:21]
	v_fma_f64 v[146:147], v[38:39], v[82:83], -v[36:37]
	s_clause 0x3
	buffer_load_dword v38, off, s[28:31], 0 offset:1544
	buffer_load_dword v39, off, s[28:31], 0 offset:1548
	;; [unrolled: 1-line block ×4, first 2 shown]
	v_add_f64 v[82:83], v[120:121], -v[10:11]
	s_waitcnt vmcnt(0) lgkmcnt(10)
	v_mul_f64 v[36:37], v[40:41], v[86:87]
	v_fma_f64 v[148:149], v[38:39], v[84:85], v[36:37]
	v_mul_f64 v[36:37], v[40:41], v[84:85]
	v_fma_f64 v[150:151], v[38:39], v[86:87], -v[36:37]
	s_clause 0x3
	buffer_load_dword v38, off, s[28:31], 0 offset:1740
	buffer_load_dword v39, off, s[28:31], 0 offset:1744
	;; [unrolled: 1-line block ×4, first 2 shown]
	s_waitcnt lgkmcnt(8)
	v_mul_f64 v[36:37], v[202:203], v[90:91]
	v_fma_f64 v[160:161], v[200:201], v[88:89], v[36:37]
	v_mul_f64 v[36:37], v[202:203], v[88:89]
	v_fma_f64 v[60:61], v[200:201], v[90:91], -v[36:37]
	s_waitcnt lgkmcnt(7)
	v_mul_f64 v[36:37], v[206:207], v[94:95]
	v_fma_f64 v[162:163], v[204:205], v[92:93], v[36:37]
	v_mul_f64 v[36:37], v[206:207], v[92:93]
	v_add_f64 v[92:93], v[22:23], -v[18:19]
	v_fma_f64 v[64:65], v[204:205], v[94:95], -v[36:37]
	v_add_f64 v[82:83], v[82:83], v[92:93]
	v_add_f64 v[92:93], v[18:19], -v[22:23]
	s_waitcnt vmcnt(0) lgkmcnt(6)
	v_mul_f64 v[36:37], v[40:41], v[98:99]
	v_fma_f64 v[94:95], v[38:39], v[96:97], v[36:37]
	v_mul_f64 v[36:37], v[40:41], v[96:97]
	v_fma_f64 v[164:165], v[38:39], v[98:99], -v[36:37]
	s_clause 0x3
	buffer_load_dword v38, off, s[28:31], 0 offset:1756
	buffer_load_dword v39, off, s[28:31], 0 offset:1760
	;; [unrolled: 1-line block ×4, first 2 shown]
	s_waitcnt vmcnt(0) lgkmcnt(0)
	s_barrier
	buffer_gl0_inv
	v_mul_f64 v[36:37], v[40:41], v[102:103]
	v_fma_f64 v[166:167], v[38:39], v[100:101], v[36:37]
	v_mul_f64 v[36:37], v[40:41], v[100:101]
	v_add_f64 v[40:41], v[8:9], -v[28:29]
	v_fma_f64 v[100:101], v[38:39], v[102:103], -v[36:37]
	v_mul_f64 v[36:37], v[178:179], v[106:107]
	v_fma_f64 v[62:63], v[176:177], v[104:105], v[36:37]
	v_mul_f64 v[36:37], v[178:179], v[104:105]
	v_fma_f64 v[76:77], v[176:177], v[106:107], -v[36:37]
	v_mul_f64 v[36:37], v[182:183], v[110:111]
	v_fma_f64 v[70:71], v[180:181], v[108:109], v[36:37]
	v_mul_f64 v[36:37], v[182:183], v[108:109]
	;; [unrolled: 4-line block ×4, first 2 shown]
	v_add_f64 v[102:103], v[88:89], -v[90:91]
	v_fma_f64 v[86:87], v[196:197], v[118:119], -v[36:37]
	v_add_f64 v[36:37], v[4:5], v[120:121]
	v_add_f64 v[36:37], v[36:37], v[10:11]
	;; [unrolled: 1-line block ×5, first 2 shown]
	v_fma_f64 v[38:39], v[36:37], -0.5, v[4:5]
	v_fma_f64 v[36:37], v[40:41], s[14:15], v[38:39]
	v_fma_f64 v[38:39], v[40:41], s[2:3], v[38:39]
	;; [unrolled: 1-line block ×6, first 2 shown]
	v_add_f64 v[38:39], v[120:121], v[22:23]
	v_add_f64 v[82:83], v[10:11], -v[120:121]
	v_add_f64 v[22:23], v[120:121], -v[22:23]
	;; [unrolled: 1-line block ×3, first 2 shown]
	v_fma_f64 v[38:39], v[38:39], -0.5, v[4:5]
	v_add_f64 v[82:83], v[82:83], v[92:93]
	v_fma_f64 v[4:5], v[80:81], s[2:3], v[38:39]
	v_fma_f64 v[38:39], v[80:81], s[14:15], v[38:39]
	v_add_f64 v[80:81], v[28:29], -v[20:21]
	v_fma_f64 v[4:5], v[40:41], s[6:7], v[4:5]
	v_fma_f64 v[38:39], v[40:41], s[8:9], v[38:39]
	v_fma_f64 v[4:5], v[82:83], s[4:5], v[4:5]
	v_fma_f64 v[152:153], v[82:83], s[4:5], v[38:39]
	v_add_f64 v[38:39], v[6:7], v[8:9]
	v_add_f64 v[38:39], v[38:39], v[16:17]
	v_add_f64 v[38:39], v[38:39], v[20:21]
	v_add_f64 v[206:207], v[38:39], v[28:29]
	v_add_f64 v[38:39], v[16:17], v[20:21]
	v_fma_f64 v[40:41], v[38:39], -0.5, v[6:7]
	v_fma_f64 v[38:39], v[22:23], s[2:3], v[40:41]
	v_fma_f64 v[18:19], v[10:11], s[8:9], v[38:39]
	v_add_f64 v[38:39], v[8:9], -v[16:17]
	v_add_f64 v[80:81], v[38:39], v[80:81]
	v_fma_f64 v[38:39], v[80:81], s[4:5], v[18:19]
	v_fma_f64 v[18:19], v[22:23], s[14:15], v[40:41]
	v_fma_f64 v[18:19], v[10:11], s[6:7], v[18:19]
	v_fma_f64 v[202:203], v[80:81], s[4:5], v[18:19]
	v_add_f64 v[18:19], v[8:9], v[28:29]
	v_add_f64 v[8:9], v[16:17], -v[8:9]
	v_add_f64 v[16:17], v[20:21], -v[28:29]
	;; [unrolled: 1-line block ×4, first 2 shown]
	v_fma_f64 v[18:19], v[18:19], -0.5, v[6:7]
	v_add_f64 v[8:9], v[8:9], v[16:17]
	v_fma_f64 v[6:7], v[10:11], s[14:15], v[18:19]
	v_fma_f64 v[10:11], v[10:11], s[2:3], v[18:19]
	v_add_f64 v[18:19], v[122:123], -v[126:127]
	v_fma_f64 v[6:7], v[22:23], s[8:9], v[6:7]
	v_fma_f64 v[10:11], v[22:23], s[6:7], v[10:11]
	v_add_f64 v[22:23], v[42:43], -v[124:125]
	v_fma_f64 v[6:7], v[8:9], s[4:5], v[6:7]
	v_fma_f64 v[154:155], v[8:9], s[4:5], v[10:11]
	v_add_f64 v[8:9], v[0:1], v[30:31]
	v_add_f64 v[10:11], v[32:33], -v[52:53]
	v_add_f64 v[20:21], v[20:21], v[22:23]
	v_add_f64 v[22:23], v[32:33], -v[122:123]
	v_add_f64 v[8:9], v[8:9], v[34:35]
	v_add_f64 v[22:23], v[22:23], v[28:29]
	v_add_f64 v[28:29], v[54:55], -v[58:59]
	v_add_f64 v[8:9], v[8:9], v[124:125]
	v_add_f64 v[80:81], v[8:9], v[42:43]
	;; [unrolled: 1-line block ×3, first 2 shown]
	v_fma_f64 v[8:9], v[8:9], -0.5, v[0:1]
	v_fma_f64 v[16:17], v[10:11], s[14:15], v[8:9]
	v_fma_f64 v[8:9], v[10:11], s[2:3], v[8:9]
	;; [unrolled: 1-line block ×6, first 2 shown]
	v_add_f64 v[8:9], v[30:31], v[42:43]
	v_add_f64 v[16:17], v[34:35], -v[30:31]
	v_add_f64 v[20:21], v[124:125], -v[42:43]
	v_fma_f64 v[8:9], v[8:9], -0.5, v[0:1]
	v_add_f64 v[16:17], v[16:17], v[20:21]
	v_add_f64 v[20:21], v[34:35], -v[124:125]
	v_fma_f64 v[0:1], v[18:19], s[2:3], v[8:9]
	v_fma_f64 v[8:9], v[18:19], s[14:15], v[8:9]
	v_fma_f64 v[0:1], v[10:11], s[6:7], v[0:1]
	v_fma_f64 v[8:9], v[10:11], s[8:9], v[8:9]
	v_add_f64 v[10:11], v[2:3], v[32:33]
	v_fma_f64 v[0:1], v[16:17], s[4:5], v[0:1]
	v_fma_f64 v[8:9], v[16:17], s[4:5], v[8:9]
	v_add_f64 v[10:11], v[10:11], v[122:123]
	v_add_f64 v[16:17], v[30:31], -v[42:43]
	v_add_f64 v[30:31], v[138:139], -v[136:137]
	v_add_f64 v[10:11], v[10:11], v[126:127]
	v_add_f64 v[28:29], v[28:29], v[30:31]
	v_add_f64 v[30:31], v[144:145], -v[148:149]
	v_add_f64 v[82:83], v[10:11], v[52:53]
	v_add_f64 v[10:11], v[122:123], v[126:127]
	v_fma_f64 v[10:11], v[10:11], -0.5, v[2:3]
	v_fma_f64 v[18:19], v[16:17], s[2:3], v[10:11]
	v_fma_f64 v[10:11], v[16:17], s[14:15], v[10:11]
	;; [unrolled: 1-line block ×6, first 2 shown]
	v_add_f64 v[10:11], v[32:33], v[52:53]
	v_add_f64 v[18:19], v[122:123], -v[32:33]
	v_add_f64 v[22:23], v[126:127], -v[52:53]
	;; [unrolled: 1-line block ×3, first 2 shown]
	v_fma_f64 v[10:11], v[10:11], -0.5, v[2:3]
	v_add_f64 v[18:19], v[18:19], v[22:23]
	v_add_f64 v[22:23], v[132:133], -v[66:67]
	v_fma_f64 v[2:3], v[20:21], s[14:15], v[10:11]
	v_fma_f64 v[10:11], v[20:21], s[2:3], v[10:11]
	;; [unrolled: 1-line block ×4, first 2 shown]
	v_add_f64 v[16:17], v[12:13], v[54:55]
	v_fma_f64 v[2:3], v[18:19], s[4:5], v[2:3]
	v_fma_f64 v[10:11], v[18:19], s[4:5], v[10:11]
	v_add_f64 v[16:17], v[16:17], v[58:59]
	v_add_f64 v[18:19], v[56:57], -v[68:69]
	v_add_f64 v[16:17], v[16:17], v[136:137]
	v_add_f64 v[96:97], v[16:17], v[138:139]
	v_add_f64 v[16:17], v[58:59], v[136:137]
	v_fma_f64 v[16:17], v[16:17], -0.5, v[12:13]
	v_fma_f64 v[20:21], v[18:19], s[14:15], v[16:17]
	v_fma_f64 v[16:17], v[18:19], s[2:3], v[16:17]
	;; [unrolled: 1-line block ×6, first 2 shown]
	v_add_f64 v[16:17], v[54:55], v[138:139]
	v_add_f64 v[20:21], v[58:59], -v[54:55]
	v_add_f64 v[28:29], v[136:137], -v[138:139]
	v_fma_f64 v[12:13], v[16:17], -0.5, v[12:13]
	v_add_f64 v[20:21], v[20:21], v[28:29]
	v_add_f64 v[28:29], v[68:69], -v[66:67]
	v_fma_f64 v[16:17], v[22:23], s[2:3], v[12:13]
	v_fma_f64 v[12:13], v[22:23], s[14:15], v[12:13]
	v_add_f64 v[22:23], v[56:57], -v[132:133]
	v_fma_f64 v[16:17], v[18:19], s[6:7], v[16:17]
	v_fma_f64 v[12:13], v[18:19], s[8:9], v[12:13]
	v_add_f64 v[22:23], v[22:23], v[28:29]
	v_add_f64 v[28:29], v[148:149], -v[144:145]
	v_fma_f64 v[196:197], v[20:21], s[4:5], v[16:17]
	v_fma_f64 v[188:189], v[20:21], s[4:5], v[12:13]
	v_add_f64 v[12:13], v[14:15], v[56:57]
	v_add_f64 v[16:17], v[54:55], -v[138:139]
	v_add_f64 v[20:21], v[58:59], -v[136:137]
	;; [unrolled: 1-line block ×4, first 2 shown]
	v_add_f64 v[12:13], v[12:13], v[132:133]
	v_add_f64 v[12:13], v[12:13], v[66:67]
	;; [unrolled: 1-line block ×4, first 2 shown]
	v_fma_f64 v[12:13], v[12:13], -0.5, v[14:15]
	v_fma_f64 v[18:19], v[16:17], s[2:3], v[12:13]
	v_fma_f64 v[12:13], v[16:17], s[14:15], v[12:13]
	v_fma_f64 v[18:19], v[20:21], s[8:9], v[18:19]
	v_fma_f64 v[12:13], v[20:21], s[6:7], v[12:13]
	v_fma_f64 v[158:159], v[22:23], s[4:5], v[18:19]
	v_fma_f64 v[34:35], v[22:23], s[4:5], v[12:13]
	v_add_f64 v[12:13], v[56:57], v[68:69]
	v_add_f64 v[18:19], v[132:133], -v[56:57]
	v_add_f64 v[22:23], v[66:67], -v[68:69]
	;; [unrolled: 1-line block ×5, first 2 shown]
	v_fma_f64 v[12:13], v[12:13], -0.5, v[14:15]
	v_add_f64 v[18:19], v[18:19], v[22:23]
	v_add_f64 v[22:23], v[142:143], -v[146:147]
	v_fma_f64 v[14:15], v[20:21], s[14:15], v[12:13]
	v_fma_f64 v[12:13], v[20:21], s[2:3], v[12:13]
	v_add_f64 v[20:21], v[140:141], -v[74:75]
	v_fma_f64 v[14:15], v[16:17], s[8:9], v[14:15]
	v_fma_f64 v[12:13], v[16:17], s[6:7], v[12:13]
	v_add_f64 v[28:29], v[20:21], v[28:29]
	v_fma_f64 v[198:199], v[18:19], s[4:5], v[14:15]
	v_fma_f64 v[190:191], v[18:19], s[4:5], v[12:13]
	v_add_f64 v[12:13], v[24:25], v[140:141]
	v_add_f64 v[14:15], v[72:73], -v[150:151]
	v_add_f64 v[12:13], v[12:13], v[74:75]
	v_add_f64 v[12:13], v[12:13], v[144:145]
	;; [unrolled: 1-line block ×4, first 2 shown]
	v_fma_f64 v[12:13], v[12:13], -0.5, v[24:25]
	v_fma_f64 v[18:19], v[14:15], s[14:15], v[12:13]
	v_fma_f64 v[12:13], v[14:15], s[2:3], v[12:13]
	;; [unrolled: 1-line block ×5, first 2 shown]
	v_add_f64 v[18:19], v[140:141], v[148:149]
	v_fma_f64 v[12:13], v[28:29], s[4:5], v[12:13]
	v_add_f64 v[28:29], v[74:75], -v[140:141]
	v_add_f64 v[74:75], v[94:95], -v[166:167]
	v_fma_f64 v[18:19], v[18:19], -0.5, v[24:25]
	v_add_f64 v[30:31], v[28:29], v[30:31]
	v_fma_f64 v[24:25], v[22:23], s[2:3], v[18:19]
	v_fma_f64 v[18:19], v[22:23], s[14:15], v[18:19]
	;; [unrolled: 1-line block ×6, first 2 shown]
	v_add_f64 v[14:15], v[26:27], v[72:73]
	v_add_f64 v[30:31], v[72:73], -v[142:143]
	v_add_f64 v[14:15], v[14:15], v[142:143]
	v_add_f64 v[30:31], v[30:31], v[56:57]
	v_add_f64 v[56:57], v[142:143], -v[72:73]
	v_add_f64 v[14:15], v[14:15], v[146:147]
	v_add_f64 v[56:57], v[56:57], v[58:59]
	;; [unrolled: 1-line block ×4, first 2 shown]
	v_fma_f64 v[14:15], v[14:15], -0.5, v[26:27]
	v_fma_f64 v[22:23], v[52:53], s[2:3], v[14:15]
	v_fma_f64 v[14:15], v[52:53], s[14:15], v[14:15]
	;; [unrolled: 1-line block ×6, first 2 shown]
	v_add_f64 v[30:31], v[72:73], v[150:151]
	v_add_f64 v[72:73], v[166:167], -v[94:95]
	v_fma_f64 v[26:27], v[30:31], -0.5, v[26:27]
	v_add_f64 v[68:69], v[68:69], v[72:73]
	v_fma_f64 v[30:31], v[54:55], s[14:15], v[26:27]
	v_fma_f64 v[26:27], v[54:55], s[2:3], v[26:27]
	v_add_f64 v[54:55], v[60:61], -v[100:101]
	v_fma_f64 v[30:31], v[52:53], s[8:9], v[30:31]
	v_fma_f64 v[26:27], v[52:53], s[6:7], v[26:27]
	v_add_f64 v[52:53], v[48:49], v[160:161]
	v_fma_f64 v[30:31], v[56:57], s[4:5], v[30:31]
	v_fma_f64 v[26:27], v[56:57], s[4:5], v[26:27]
	v_add_f64 v[52:53], v[52:53], v[162:163]
	v_add_f64 v[52:53], v[52:53], v[94:95]
	;; [unrolled: 1-line block ×4, first 2 shown]
	v_fma_f64 v[52:53], v[52:53], -0.5, v[48:49]
	v_fma_f64 v[58:59], v[54:55], s[14:15], v[52:53]
	v_fma_f64 v[52:53], v[54:55], s[2:3], v[52:53]
	;; [unrolled: 1-line block ×5, first 2 shown]
	v_add_f64 v[58:59], v[160:161], v[166:167]
	v_fma_f64 v[52:53], v[68:69], s[4:5], v[52:53]
	v_add_f64 v[68:69], v[162:163], -v[160:161]
	v_fma_f64 v[48:49], v[58:59], -0.5, v[48:49]
	v_add_f64 v[68:69], v[68:69], v[74:75]
	v_add_f64 v[74:75], v[60:61], -v[64:65]
	v_fma_f64 v[58:59], v[66:67], s[2:3], v[48:49]
	v_fma_f64 v[48:49], v[66:67], s[14:15], v[48:49]
	v_add_f64 v[66:67], v[160:161], -v[166:167]
	v_fma_f64 v[58:59], v[54:55], s[6:7], v[58:59]
	v_fma_f64 v[48:49], v[54:55], s[8:9], v[48:49]
	;; [unrolled: 1-line block ×4, first 2 shown]
	v_add_f64 v[48:49], v[50:51], v[60:61]
	v_add_f64 v[68:69], v[162:163], -v[94:95]
	v_add_f64 v[94:95], v[100:101], -v[164:165]
	v_add_f64 v[48:49], v[48:49], v[64:65]
	v_add_f64 v[94:95], v[74:75], v[94:95]
	;; [unrolled: 1-line block ×5, first 2 shown]
	v_fma_f64 v[48:49], v[48:49], -0.5, v[50:51]
	v_fma_f64 v[54:55], v[66:67], s[2:3], v[48:49]
	v_fma_f64 v[48:49], v[66:67], s[14:15], v[48:49]
	v_fma_f64 v[54:55], v[68:69], s[8:9], v[54:55]
	v_fma_f64 v[48:49], v[68:69], s[6:7], v[48:49]
	v_fma_f64 v[74:75], v[94:95], s[4:5], v[54:55]
	v_fma_f64 v[54:55], v[94:95], s[4:5], v[48:49]
	v_add_f64 v[48:49], v[60:61], v[100:101]
	v_add_f64 v[60:61], v[64:65], -v[60:61]
	v_add_f64 v[64:65], v[164:165], -v[100:101]
	;; [unrolled: 1-line block ×3, first 2 shown]
	v_fma_f64 v[48:49], v[48:49], -0.5, v[50:51]
	v_add_f64 v[60:61], v[60:61], v[64:65]
	v_fma_f64 v[50:51], v[68:69], s[14:15], v[48:49]
	v_fma_f64 v[48:49], v[68:69], s[2:3], v[48:49]
	v_add_f64 v[68:69], v[62:63], -v[70:71]
	v_fma_f64 v[50:51], v[66:67], s[8:9], v[50:51]
	v_fma_f64 v[48:49], v[66:67], s[6:7], v[48:49]
	v_add_f64 v[66:67], v[78:79], -v[84:85]
	v_add_f64 v[68:69], v[68:69], v[100:101]
	v_add_f64 v[100:101], v[70:71], -v[62:63]
	v_fma_f64 v[106:107], v[60:61], s[4:5], v[50:51]
	v_fma_f64 v[94:95], v[60:61], s[4:5], v[48:49]
	v_add_f64 v[48:49], v[44:45], v[62:63]
	v_add_f64 v[50:51], v[76:77], -v[86:87]
	v_add_f64 v[100:101], v[100:101], v[102:103]
	v_add_f64 v[48:49], v[48:49], v[70:71]
	;; [unrolled: 1-line block ×5, first 2 shown]
	v_add_f64 v[88:89], v[70:71], -v[88:89]
	v_add_f64 v[70:71], v[76:77], -v[78:79]
	v_fma_f64 v[48:49], v[48:49], -0.5, v[44:45]
	v_fma_f64 v[60:61], v[50:51], s[14:15], v[48:49]
	v_fma_f64 v[48:49], v[50:51], s[2:3], v[48:49]
	;; [unrolled: 1-line block ×6, first 2 shown]
	v_add_f64 v[48:49], v[62:63], v[90:91]
	v_add_f64 v[90:91], v[62:63], -v[90:91]
	v_fma_f64 v[44:45], v[48:49], -0.5, v[44:45]
	v_fma_f64 v[48:49], v[66:67], s[2:3], v[44:45]
	v_fma_f64 v[44:45], v[66:67], s[14:15], v[44:45]
	;; [unrolled: 1-line block ×4, first 2 shown]
	v_add_f64 v[50:51], v[46:47], v[76:77]
	v_fma_f64 v[48:49], v[100:101], s[4:5], v[48:49]
	v_fma_f64 v[44:45], v[100:101], s[4:5], v[44:45]
	v_add_f64 v[50:51], v[50:51], v[78:79]
	v_add_f64 v[100:101], v[86:87], -v[84:85]
	v_add_f64 v[50:51], v[50:51], v[84:85]
	v_add_f64 v[70:71], v[70:71], v[100:101]
	;; [unrolled: 1-line block ×4, first 2 shown]
	v_fma_f64 v[50:51], v[50:51], -0.5, v[46:47]
	v_fma_f64 v[62:63], v[90:91], s[2:3], v[50:51]
	v_fma_f64 v[50:51], v[90:91], s[14:15], v[50:51]
	;; [unrolled: 1-line block ×6, first 2 shown]
	v_add_f64 v[50:51], v[76:77], v[86:87]
	v_add_f64 v[76:77], v[78:79], -v[76:77]
	v_add_f64 v[78:79], v[84:85], -v[86:87]
	v_fma_f64 v[46:47], v[50:51], -0.5, v[46:47]
	v_add_f64 v[76:77], v[76:77], v[78:79]
	v_fma_f64 v[50:51], v[88:89], s[14:15], v[46:47]
	v_fma_f64 v[46:47], v[88:89], s[2:3], v[46:47]
	;; [unrolled: 1-line block ×6, first 2 shown]
	buffer_load_dword v76, off, s[28:31], 0 offset:1836 ; 4-byte Folded Reload
	s_waitcnt vmcnt(0)
	ds_write_b128 v76, v[204:207]
	ds_write_b128 v76, v[36:39] offset:48
	ds_write_b128 v76, v[4:7] offset:96
	ds_write_b128 v76, v[152:155] offset:144
	ds_write_b128 v76, v[200:203] offset:192
	buffer_load_dword v4, off, s[28:31], 0 offset:1832 ; 4-byte Folded Reload
	s_waitcnt vmcnt(0)
	ds_write_b128 v4, v[80:83]
	ds_write_b128 v4, v[128:131] offset:48
	ds_write_b128 v4, v[0:3] offset:96
	ds_write_b128 v4, v[8:11] offset:144
	ds_write_b128 v4, v[40:43] offset:192
	;; [unrolled: 7-line block ×6, first 2 shown]
	s_waitcnt lgkmcnt(0)
	s_barrier
	buffer_gl0_inv
	ds_read_b128 v[16:19], v134
	ds_read_b128 v[20:23], v134 offset:12000
	ds_read_b128 v[24:27], v134 offset:24000
	;; [unrolled: 1-line block ×29, first 2 shown]
	s_clause 0x3
	buffer_load_dword v122, off, s[28:31], 0 offset:752
	buffer_load_dword v123, off, s[28:31], 0 offset:756
	buffer_load_dword v124, off, s[28:31], 0 offset:760
	buffer_load_dword v125, off, s[28:31], 0 offset:764
	s_waitcnt vmcnt(0) lgkmcnt(28)
	v_mul_f64 v[120:121], v[124:125], v[22:23]
	v_fma_f64 v[120:121], v[122:123], v[20:21], v[120:121]
	v_mul_f64 v[20:21], v[124:125], v[20:21]
	v_fma_f64 v[20:21], v[122:123], v[22:23], -v[20:21]
	s_clause 0x3
	buffer_load_dword v122, off, s[28:31], 0 offset:768
	buffer_load_dword v123, off, s[28:31], 0 offset:772
	buffer_load_dword v124, off, s[28:31], 0 offset:776
	buffer_load_dword v125, off, s[28:31], 0 offset:780
	s_waitcnt vmcnt(0) lgkmcnt(27)
	v_mul_f64 v[22:23], v[124:125], v[26:27]
	v_fma_f64 v[22:23], v[122:123], v[24:25], v[22:23]
	v_mul_f64 v[24:25], v[124:125], v[24:25]
	v_fma_f64 v[24:25], v[122:123], v[26:27], -v[24:25]
	;; [unrolled: 10-line block ×4, first 2 shown]
	s_clause 0x7
	buffer_load_dword v122, off, s[28:31], 0 offset:880
	buffer_load_dword v123, off, s[28:31], 0 offset:884
	;; [unrolled: 1-line block ×8, first 2 shown]
	s_waitcnt vmcnt(4) lgkmcnt(23)
	v_mul_f64 v[34:35], v[124:125], v[38:39]
	v_fma_f64 v[34:35], v[122:123], v[36:37], v[34:35]
	v_mul_f64 v[36:37], v[124:125], v[36:37]
	v_fma_f64 v[122:123], v[122:123], v[38:39], -v[36:37]
	s_waitcnt vmcnt(0) lgkmcnt(22)
	v_mul_f64 v[36:37], v[128:129], v[42:43]
	v_fma_f64 v[124:125], v[126:127], v[40:41], v[36:37]
	v_mul_f64 v[36:37], v[128:129], v[40:41]
	s_clause 0x3
	buffer_load_dword v38, off, s[28:31], 0 offset:912
	buffer_load_dword v39, off, s[28:31], 0 offset:916
	;; [unrolled: 1-line block ×4, first 2 shown]
	v_fma_f64 v[126:127], v[126:127], v[42:43], -v[36:37]
	s_waitcnt vmcnt(0) lgkmcnt(21)
	v_mul_f64 v[36:37], v[40:41], v[50:51]
	v_fma_f64 v[42:43], v[38:39], v[48:49], v[36:37]
	v_mul_f64 v[36:37], v[40:41], v[48:49]
	v_fma_f64 v[128:129], v[38:39], v[50:51], -v[36:37]
	s_clause 0x3
	buffer_load_dword v38, off, s[28:31], 0 offset:928
	buffer_load_dword v39, off, s[28:31], 0 offset:932
	buffer_load_dword v40, off, s[28:31], 0 offset:936
	buffer_load_dword v41, off, s[28:31], 0 offset:940
	s_waitcnt vmcnt(0) lgkmcnt(20)
	v_mul_f64 v[36:37], v[40:41], v[54:55]
	v_fma_f64 v[130:131], v[38:39], v[52:53], v[36:37]
	v_mul_f64 v[36:37], v[40:41], v[52:53]
	v_fma_f64 v[52:53], v[38:39], v[54:55], -v[36:37]
	s_clause 0x3
	buffer_load_dword v38, off, s[28:31], 0 offset:1076
	buffer_load_dword v39, off, s[28:31], 0 offset:1080
	buffer_load_dword v40, off, s[28:31], 0 offset:1084
	buffer_load_dword v41, off, s[28:31], 0 offset:1088
	;; [unrolled: 10-line block ×4, first 2 shown]
	s_waitcnt vmcnt(0) lgkmcnt(16)
	v_mul_f64 v[36:37], v[40:41], v[66:67]
	v_fma_f64 v[62:63], v[38:39], v[64:65], v[36:37]
	v_mul_f64 v[36:37], v[40:41], v[64:65]
	v_add_f64 v[64:65], v[24:25], -v[28:29]
	v_fma_f64 v[132:133], v[38:39], v[66:67], -v[36:37]
	s_clause 0x3
	buffer_load_dword v38, off, s[28:31], 0 offset:1124
	buffer_load_dword v39, off, s[28:31], 0 offset:1128
	;; [unrolled: 1-line block ×4, first 2 shown]
	v_add_f64 v[66:67], v[120:121], -v[22:23]
	s_waitcnt vmcnt(0) lgkmcnt(15)
	v_mul_f64 v[36:37], v[40:41], v[70:71]
	v_fma_f64 v[136:137], v[38:39], v[68:69], v[36:37]
	v_mul_f64 v[36:37], v[40:41], v[68:69]
	v_fma_f64 v[138:139], v[38:39], v[70:71], -v[36:37]
	s_clause 0x3
	buffer_load_dword v38, off, s[28:31], 0 offset:1240
	buffer_load_dword v39, off, s[28:31], 0 offset:1244
	buffer_load_dword v40, off, s[28:31], 0 offset:1248
	buffer_load_dword v41, off, s[28:31], 0 offset:1252
	s_waitcnt vmcnt(0) lgkmcnt(13)
	v_mul_f64 v[36:37], v[40:41], v[74:75]
	v_fma_f64 v[140:141], v[38:39], v[72:73], v[36:37]
	v_mul_f64 v[36:37], v[40:41], v[72:73]
	v_fma_f64 v[72:73], v[38:39], v[74:75], -v[36:37]
	s_clause 0x3
	buffer_load_dword v38, off, s[28:31], 0 offset:1272
	buffer_load_dword v39, off, s[28:31], 0 offset:1276
	buffer_load_dword v40, off, s[28:31], 0 offset:1280
	buffer_load_dword v41, off, s[28:31], 0 offset:1284
	;; [unrolled: 10-line block ×6, first 2 shown]
	s_waitcnt vmcnt(0) lgkmcnt(7)
	v_mul_f64 v[36:37], v[40:41], v[94:95]
	v_fma_f64 v[90:91], v[38:39], v[92:93], v[36:37]
	v_mul_f64 v[36:37], v[40:41], v[92:93]
	v_add_f64 v[92:93], v[30:31], -v[26:27]
	v_fma_f64 v[74:75], v[38:39], v[94:95], -v[36:37]
	s_clause 0x3
	buffer_load_dword v38, off, s[28:31], 0 offset:1592
	buffer_load_dword v39, off, s[28:31], 0 offset:1596
	;; [unrolled: 1-line block ×4, first 2 shown]
	v_add_f64 v[66:67], v[66:67], v[92:93]
	v_add_f64 v[92:93], v[26:27], -v[30:31]
	s_waitcnt vmcnt(0) lgkmcnt(6)
	v_mul_f64 v[36:37], v[40:41], v[98:99]
	v_fma_f64 v[168:169], v[38:39], v[96:97], v[36:37]
	v_mul_f64 v[36:37], v[40:41], v[96:97]
	v_fma_f64 v[170:171], v[38:39], v[98:99], -v[36:37]
	s_clause 0x3
	buffer_load_dword v38, off, s[28:31], 0 offset:1624
	buffer_load_dword v39, off, s[28:31], 0 offset:1628
	;; [unrolled: 1-line block ×4, first 2 shown]
	s_waitcnt vmcnt(0) lgkmcnt(5)
	v_mul_f64 v[36:37], v[40:41], v[102:103]
	v_fma_f64 v[175:176], v[38:39], v[100:101], v[36:37]
	v_mul_f64 v[36:37], v[40:41], v[100:101]
	v_fma_f64 v[100:101], v[38:39], v[102:103], -v[36:37]
	s_clause 0x3
	buffer_load_dword v38, off, s[28:31], 0 offset:1776
	buffer_load_dword v39, off, s[28:31], 0 offset:1780
	;; [unrolled: 1-line block ×4, first 2 shown]
	s_waitcnt lgkmcnt(3)
	v_mul_f64 v[36:37], v[234:235], v[106:107]
	v_fma_f64 v[76:77], v[232:233], v[104:105], v[36:37]
	v_mul_f64 v[36:37], v[234:235], v[104:105]
	v_fma_f64 v[50:51], v[232:233], v[106:107], -v[36:37]
	s_waitcnt lgkmcnt(2)
	v_mul_f64 v[36:37], v[250:251], v[110:111]
	v_fma_f64 v[78:79], v[248:249], v[108:109], v[36:37]
	v_mul_f64 v[36:37], v[250:251], v[108:109]
	v_fma_f64 v[68:69], v[248:249], v[110:111], -v[36:37]
	s_waitcnt vmcnt(0) lgkmcnt(1)
	v_mul_f64 v[36:37], v[40:41], v[114:115]
	v_fma_f64 v[86:87], v[38:39], v[112:113], v[36:37]
	v_mul_f64 v[36:37], v[40:41], v[112:113]
	v_fma_f64 v[70:71], v[38:39], v[114:115], -v[36:37]
	s_clause 0x3
	buffer_load_dword v38, off, s[28:31], 0 offset:1792
	buffer_load_dword v39, off, s[28:31], 0 offset:1796
	;; [unrolled: 1-line block ×4, first 2 shown]
	s_waitcnt vmcnt(0) lgkmcnt(0)
	s_barrier
	buffer_gl0_inv
	v_mul_f64 v[36:37], v[40:41], v[118:119]
	v_fma_f64 v[88:89], v[38:39], v[116:117], v[36:37]
	v_mul_f64 v[36:37], v[40:41], v[116:117]
	v_add_f64 v[40:41], v[20:21], -v[32:33]
	v_fma_f64 v[84:85], v[38:39], v[118:119], -v[36:37]
	v_add_f64 v[36:37], v[16:17], v[120:121]
	v_add_f64 v[36:37], v[36:37], v[22:23]
	;; [unrolled: 1-line block ×5, first 2 shown]
	v_fma_f64 v[38:39], v[36:37], -0.5, v[16:17]
	v_fma_f64 v[36:37], v[40:41], s[14:15], v[38:39]
	v_fma_f64 v[38:39], v[40:41], s[2:3], v[38:39]
	;; [unrolled: 1-line block ×6, first 2 shown]
	v_add_f64 v[38:39], v[120:121], v[30:31]
	v_add_f64 v[66:67], v[22:23], -v[120:121]
	v_add_f64 v[30:31], v[120:121], -v[30:31]
	;; [unrolled: 1-line block ×3, first 2 shown]
	v_fma_f64 v[16:17], v[38:39], -0.5, v[16:17]
	v_add_f64 v[66:67], v[66:67], v[92:93]
	v_fma_f64 v[38:39], v[64:65], s[2:3], v[16:17]
	v_fma_f64 v[16:17], v[64:65], s[14:15], v[16:17]
	;; [unrolled: 1-line block ×4, first 2 shown]
	v_add_f64 v[40:41], v[32:33], -v[28:29]
	v_fma_f64 v[112:113], v[66:67], s[4:5], v[38:39]
	v_fma_f64 v[156:157], v[66:67], s[4:5], v[16:17]
	v_add_f64 v[16:17], v[18:19], v[20:21]
	v_add_f64 v[16:17], v[16:17], v[24:25]
	;; [unrolled: 1-line block ×5, first 2 shown]
	v_fma_f64 v[16:17], v[16:17], -0.5, v[18:19]
	v_fma_f64 v[38:39], v[30:31], s[2:3], v[16:17]
	v_fma_f64 v[16:17], v[30:31], s[14:15], v[16:17]
	;; [unrolled: 1-line block ×3, first 2 shown]
	v_add_f64 v[38:39], v[20:21], -v[24:25]
	v_fma_f64 v[16:17], v[22:23], s[6:7], v[16:17]
	v_add_f64 v[40:41], v[38:39], v[40:41]
	v_fma_f64 v[98:99], v[40:41], s[4:5], v[16:17]
	v_add_f64 v[16:17], v[20:21], v[32:33]
	v_add_f64 v[20:21], v[24:25], -v[20:21]
	v_add_f64 v[24:25], v[28:29], -v[32:33]
	v_fma_f64 v[38:39], v[40:41], s[4:5], v[26:27]
	v_add_f64 v[26:27], v[130:131], -v[42:43]
	v_fma_f64 v[16:17], v[16:17], -0.5, v[18:19]
	v_add_f64 v[20:21], v[20:21], v[24:25]
	v_add_f64 v[24:25], v[34:35], -v[124:125]
	v_fma_f64 v[18:19], v[22:23], s[14:15], v[16:17]
	v_fma_f64 v[16:17], v[22:23], s[2:3], v[16:17]
	v_add_f64 v[22:23], v[126:127], -v[128:129]
	v_add_f64 v[24:25], v[24:25], v[26:27]
	v_add_f64 v[26:27], v[142:143], -v[150:151]
	v_fma_f64 v[18:19], v[30:31], s[8:9], v[18:19]
	v_fma_f64 v[16:17], v[30:31], s[6:7], v[16:17]
	v_add_f64 v[30:31], v[80:81], -v[160:161]
	v_fma_f64 v[114:115], v[20:21], s[4:5], v[18:19]
	v_fma_f64 v[158:159], v[20:21], s[4:5], v[16:17]
	v_add_f64 v[16:17], v[12:13], v[34:35]
	v_add_f64 v[18:19], v[122:123], -v[52:53]
	ds_write_b128 v173, v[144:147]
	ds_write_b128 v173, v[36:39] offset:240
	ds_write_b128 v173, v[112:115] offset:480
	ds_write_b128 v173, v[156:159] offset:720
	ds_write_b128 v173, v[96:99] offset:960
	buffer_load_dword v36, off, s[28:31], 0 offset:1828 ; 4-byte Folded Reload
	v_add_f64 v[16:17], v[16:17], v[124:125]
	v_add_f64 v[16:17], v[16:17], v[42:43]
	;; [unrolled: 1-line block ×4, first 2 shown]
	v_fma_f64 v[16:17], v[16:17], -0.5, v[12:13]
	v_fma_f64 v[20:21], v[18:19], s[14:15], v[16:17]
	v_fma_f64 v[16:17], v[18:19], s[2:3], v[16:17]
	;; [unrolled: 1-line block ×6, first 2 shown]
	v_add_f64 v[16:17], v[34:35], v[130:131]
	v_add_f64 v[20:21], v[124:125], -v[34:35]
	v_add_f64 v[24:25], v[42:43], -v[130:131]
	v_fma_f64 v[12:13], v[16:17], -0.5, v[12:13]
	v_add_f64 v[20:21], v[20:21], v[24:25]
	v_add_f64 v[24:25], v[52:53], -v[128:129]
	v_fma_f64 v[16:17], v[22:23], s[2:3], v[12:13]
	v_fma_f64 v[12:13], v[22:23], s[14:15], v[12:13]
	v_add_f64 v[22:23], v[122:123], -v[126:127]
	v_fma_f64 v[16:17], v[18:19], s[6:7], v[16:17]
	v_fma_f64 v[12:13], v[18:19], s[8:9], v[12:13]
	v_add_f64 v[22:23], v[22:23], v[24:25]
	v_fma_f64 v[64:65], v[20:21], s[4:5], v[16:17]
	v_fma_f64 v[164:165], v[20:21], s[4:5], v[12:13]
	v_add_f64 v[12:13], v[14:15], v[122:123]
	v_add_f64 v[16:17], v[34:35], -v[130:131]
	v_add_f64 v[20:21], v[124:125], -v[42:43]
	v_add_f64 v[12:13], v[12:13], v[126:127]
	v_add_f64 v[12:13], v[12:13], v[128:129]
	;; [unrolled: 1-line block ×4, first 2 shown]
	v_fma_f64 v[12:13], v[12:13], -0.5, v[14:15]
	v_fma_f64 v[18:19], v[16:17], s[2:3], v[12:13]
	v_fma_f64 v[12:13], v[16:17], s[14:15], v[12:13]
	;; [unrolled: 1-line block ×6, first 2 shown]
	v_add_f64 v[12:13], v[122:123], v[52:53]
	v_add_f64 v[18:19], v[126:127], -v[122:123]
	v_add_f64 v[22:23], v[128:129], -v[52:53]
	;; [unrolled: 1-line block ×3, first 2 shown]
	v_fma_f64 v[12:13], v[12:13], -0.5, v[14:15]
	v_add_f64 v[18:19], v[18:19], v[22:23]
	v_add_f64 v[22:23], v[136:137], -v[62:63]
	v_fma_f64 v[14:15], v[20:21], s[14:15], v[12:13]
	v_fma_f64 v[12:13], v[20:21], s[2:3], v[12:13]
	v_add_f64 v[20:21], v[54:55], -v[58:59]
	v_fma_f64 v[14:15], v[16:17], s[8:9], v[14:15]
	v_fma_f64 v[12:13], v[16:17], s[6:7], v[12:13]
	v_add_f64 v[20:21], v[20:21], v[22:23]
	v_add_f64 v[22:23], v[150:151], -v[82:83]
	v_fma_f64 v[66:67], v[18:19], s[4:5], v[14:15]
	v_fma_f64 v[166:167], v[18:19], s[4:5], v[12:13]
	v_add_f64 v[12:13], v[8:9], v[54:55]
	v_add_f64 v[14:15], v[56:57], -v[138:139]
	v_add_f64 v[18:19], v[60:61], -v[132:133]
	s_waitcnt vmcnt(0)
	ds_write_b128 v36, v[116:119]
	ds_write_b128 v36, v[152:155] offset:240
	ds_write_b128 v36, v[64:67] offset:480
	;; [unrolled: 1-line block ×4, first 2 shown]
	buffer_load_dword v36, off, s[28:31], 0 offset:1772 ; 4-byte Folded Reload
	v_add_f64 v[12:13], v[12:13], v[58:59]
	v_add_f64 v[12:13], v[12:13], v[62:63]
	;; [unrolled: 1-line block ×4, first 2 shown]
	v_fma_f64 v[12:13], v[12:13], -0.5, v[8:9]
	v_fma_f64 v[16:17], v[14:15], s[14:15], v[12:13]
	v_fma_f64 v[12:13], v[14:15], s[2:3], v[12:13]
	;; [unrolled: 1-line block ×6, first 2 shown]
	v_add_f64 v[12:13], v[54:55], v[136:137]
	v_add_f64 v[16:17], v[58:59], -v[54:55]
	v_add_f64 v[20:21], v[62:63], -v[136:137]
	v_fma_f64 v[8:9], v[12:13], -0.5, v[8:9]
	v_add_f64 v[16:17], v[16:17], v[20:21]
	v_add_f64 v[20:21], v[138:139], -v[132:133]
	v_fma_f64 v[12:13], v[18:19], s[2:3], v[8:9]
	v_fma_f64 v[8:9], v[18:19], s[14:15], v[8:9]
	v_add_f64 v[18:19], v[56:57], -v[60:61]
	v_fma_f64 v[12:13], v[14:15], s[6:7], v[12:13]
	v_fma_f64 v[8:9], v[14:15], s[8:9], v[8:9]
	v_add_f64 v[18:19], v[18:19], v[20:21]
	v_add_f64 v[20:21], v[82:83], -v[150:151]
	v_fma_f64 v[128:129], v[16:17], s[4:5], v[12:13]
	v_fma_f64 v[120:121], v[16:17], s[4:5], v[8:9]
	v_add_f64 v[8:9], v[10:11], v[56:57]
	v_add_f64 v[12:13], v[54:55], -v[136:137]
	v_add_f64 v[16:17], v[58:59], -v[62:63]
	;; [unrolled: 1-line block ×3, first 2 shown]
	v_add_f64 v[8:9], v[8:9], v[60:61]
	v_add_f64 v[52:53], v[52:53], v[54:55]
	v_add_f64 v[54:55], v[168:169], -v[175:176]
	v_add_f64 v[8:9], v[8:9], v[132:133]
	v_add_f64 v[94:95], v[8:9], v[138:139]
	;; [unrolled: 1-line block ×3, first 2 shown]
	v_fma_f64 v[8:9], v[8:9], -0.5, v[10:11]
	v_fma_f64 v[14:15], v[12:13], s[2:3], v[8:9]
	v_fma_f64 v[8:9], v[12:13], s[14:15], v[8:9]
	;; [unrolled: 1-line block ×6, first 2 shown]
	v_add_f64 v[8:9], v[56:57], v[138:139]
	v_add_f64 v[14:15], v[60:61], -v[56:57]
	v_add_f64 v[18:19], v[132:133], -v[138:139]
	v_fma_f64 v[8:9], v[8:9], -0.5, v[10:11]
	v_add_f64 v[14:15], v[14:15], v[18:19]
	v_add_f64 v[18:19], v[140:141], -v[142:143]
	v_fma_f64 v[10:11], v[16:17], s[14:15], v[8:9]
	v_fma_f64 v[8:9], v[16:17], s[2:3], v[8:9]
	v_add_f64 v[18:19], v[18:19], v[20:21]
	v_fma_f64 v[10:11], v[12:13], s[8:9], v[10:11]
	v_fma_f64 v[8:9], v[12:13], s[6:7], v[8:9]
	;; [unrolled: 1-line block ×4, first 2 shown]
	v_add_f64 v[8:9], v[4:5], v[140:141]
	v_add_f64 v[10:11], v[72:73], -v[160:161]
	v_add_f64 v[14:15], v[148:149], -v[80:81]
	s_waitcnt vmcnt(0)
	ds_write_b128 v36, v[92:95]
	ds_write_b128 v36, v[104:107] offset:240
	ds_write_b128 v36, v[128:131] offset:480
	;; [unrolled: 1-line block ×4, first 2 shown]
	buffer_load_dword v32, off, s[28:31], 0 offset:1156 ; 4-byte Folded Reload
	v_add_f64 v[8:9], v[8:9], v[142:143]
	v_add_f64 v[8:9], v[8:9], v[150:151]
	v_add_f64 v[16:17], v[8:9], v[82:83]
	v_add_f64 v[8:9], v[142:143], v[150:151]
	v_fma_f64 v[8:9], v[8:9], -0.5, v[4:5]
	v_fma_f64 v[12:13], v[10:11], s[14:15], v[8:9]
	v_fma_f64 v[8:9], v[10:11], s[2:3], v[8:9]
	;; [unrolled: 1-line block ×6, first 2 shown]
	v_add_f64 v[8:9], v[140:141], v[82:83]
	v_add_f64 v[18:19], v[142:143], -v[140:141]
	v_fma_f64 v[4:5], v[8:9], -0.5, v[4:5]
	v_add_f64 v[18:19], v[18:19], v[22:23]
	v_add_f64 v[22:23], v[160:161], -v[80:81]
	v_fma_f64 v[8:9], v[14:15], s[2:3], v[4:5]
	v_fma_f64 v[4:5], v[14:15], s[14:15], v[4:5]
	v_add_f64 v[14:15], v[72:73], -v[148:149]
	v_fma_f64 v[8:9], v[10:11], s[6:7], v[8:9]
	v_fma_f64 v[4:5], v[10:11], s[8:9], v[4:5]
	v_add_f64 v[14:15], v[14:15], v[22:23]
	v_fma_f64 v[28:29], v[18:19], s[4:5], v[8:9]
	v_fma_f64 v[24:25], v[18:19], s[4:5], v[4:5]
	v_add_f64 v[4:5], v[6:7], v[72:73]
	v_add_f64 v[8:9], v[140:141], -v[82:83]
	v_add_f64 v[4:5], v[4:5], v[148:149]
	v_add_f64 v[4:5], v[4:5], v[80:81]
	;; [unrolled: 1-line block ×4, first 2 shown]
	v_fma_f64 v[4:5], v[4:5], -0.5, v[6:7]
	v_fma_f64 v[10:11], v[8:9], s[2:3], v[4:5]
	v_fma_f64 v[4:5], v[8:9], s[14:15], v[4:5]
	;; [unrolled: 1-line block ×6, first 2 shown]
	v_add_f64 v[4:5], v[72:73], v[160:161]
	v_add_f64 v[10:11], v[148:149], -v[72:73]
	v_fma_f64 v[4:5], v[4:5], -0.5, v[6:7]
	v_add_f64 v[10:11], v[10:11], v[30:31]
	v_fma_f64 v[6:7], v[26:27], s[14:15], v[4:5]
	v_fma_f64 v[4:5], v[26:27], s[2:3], v[4:5]
	;; [unrolled: 1-line block ×6, first 2 shown]
	v_add_f64 v[4:5], v[0:1], v[162:163]
	v_add_f64 v[6:7], v[48:49], -v[100:101]
	v_add_f64 v[10:11], v[74:75], -v[170:171]
	s_waitcnt vmcnt(0)
	ds_write_b128 v32, v[16:19]
	ds_write_b128 v32, v[20:23] offset:240
	ds_write_b128 v32, v[28:31] offset:480
	;; [unrolled: 1-line block ×4, first 2 shown]
	buffer_load_dword v12, off, s[28:31], 0 offset:748 ; 4-byte Folded Reload
	v_add_f64 v[4:5], v[4:5], v[90:91]
	v_add_f64 v[4:5], v[4:5], v[168:169]
	;; [unrolled: 1-line block ×4, first 2 shown]
	v_fma_f64 v[4:5], v[4:5], -0.5, v[0:1]
	v_fma_f64 v[8:9], v[6:7], s[14:15], v[4:5]
	v_fma_f64 v[4:5], v[6:7], s[2:3], v[4:5]
	;; [unrolled: 1-line block ×6, first 2 shown]
	v_add_f64 v[4:5], v[162:163], v[175:176]
	v_add_f64 v[8:9], v[90:91], -v[162:163]
	v_fma_f64 v[0:1], v[4:5], -0.5, v[0:1]
	v_add_f64 v[8:9], v[8:9], v[54:55]
	v_add_f64 v[54:55], v[100:101], -v[170:171]
	v_fma_f64 v[4:5], v[10:11], s[2:3], v[0:1]
	v_fma_f64 v[0:1], v[10:11], s[14:15], v[0:1]
	v_add_f64 v[10:11], v[48:49], -v[74:75]
	v_fma_f64 v[4:5], v[6:7], s[6:7], v[4:5]
	v_fma_f64 v[0:1], v[6:7], s[8:9], v[0:1]
	v_add_f64 v[10:11], v[10:11], v[54:55]
	v_fma_f64 v[80:81], v[8:9], s[4:5], v[4:5]
	v_fma_f64 v[72:73], v[8:9], s[4:5], v[0:1]
	v_add_f64 v[0:1], v[2:3], v[48:49]
	v_add_f64 v[4:5], v[162:163], -v[175:176]
	v_add_f64 v[8:9], v[90:91], -v[168:169]
	;; [unrolled: 1-line block ×3, first 2 shown]
	v_add_f64 v[0:1], v[0:1], v[74:75]
	v_add_f64 v[0:1], v[0:1], v[170:171]
	;; [unrolled: 1-line block ×4, first 2 shown]
	v_fma_f64 v[0:1], v[0:1], -0.5, v[2:3]
	v_fma_f64 v[6:7], v[4:5], s[2:3], v[0:1]
	v_fma_f64 v[0:1], v[4:5], s[14:15], v[0:1]
	;; [unrolled: 1-line block ×6, first 2 shown]
	v_add_f64 v[0:1], v[48:49], v[100:101]
	v_add_f64 v[6:7], v[74:75], -v[48:49]
	v_add_f64 v[10:11], v[170:171], -v[100:101]
	;; [unrolled: 1-line block ×3, first 2 shown]
	v_fma_f64 v[0:1], v[0:1], -0.5, v[2:3]
	v_add_f64 v[6:7], v[6:7], v[10:11]
	v_add_f64 v[10:11], v[68:69], -v[70:71]
	v_fma_f64 v[2:3], v[8:9], s[14:15], v[0:1]
	v_fma_f64 v[0:1], v[8:9], s[2:3], v[0:1]
	v_add_f64 v[8:9], v[76:77], -v[78:79]
	v_fma_f64 v[2:3], v[4:5], s[8:9], v[2:3]
	v_fma_f64 v[0:1], v[4:5], s[6:7], v[0:1]
	v_add_f64 v[48:49], v[8:9], v[48:49]
	v_fma_f64 v[82:83], v[6:7], s[4:5], v[2:3]
	v_fma_f64 v[74:75], v[6:7], s[4:5], v[0:1]
	v_add_f64 v[0:1], v[44:45], v[76:77]
	v_add_f64 v[2:3], v[50:51], -v[84:85]
	s_waitcnt vmcnt(0)
	ds_write_b128 v12, v[56:59]
	ds_write_b128 v12, v[60:63] offset:240
	ds_write_b128 v12, v[80:83] offset:480
	;; [unrolled: 1-line block ×4, first 2 shown]
	buffer_load_dword v12, off, s[28:31], 0 offset:508 ; 4-byte Folded Reload
	v_add_f64 v[0:1], v[0:1], v[78:79]
	v_add_f64 v[0:1], v[0:1], v[86:87]
	;; [unrolled: 1-line block ×4, first 2 shown]
	v_fma_f64 v[0:1], v[0:1], -0.5, v[44:45]
	v_fma_f64 v[6:7], v[2:3], s[14:15], v[0:1]
	v_fma_f64 v[0:1], v[2:3], s[2:3], v[0:1]
	;; [unrolled: 1-line block ×5, first 2 shown]
	v_add_f64 v[6:7], v[76:77], v[88:89]
	v_fma_f64 v[0:1], v[48:49], s[4:5], v[0:1]
	v_add_f64 v[48:49], v[78:79], -v[76:77]
	v_add_f64 v[76:77], v[76:77], -v[88:89]
	v_add_f64 v[78:79], v[78:79], -v[86:87]
	v_add_f64 v[86:87], v[50:51], -v[68:69]
	v_add_f64 v[88:89], v[84:85], -v[70:71]
	v_fma_f64 v[6:7], v[6:7], -0.5, v[44:45]
	v_add_f64 v[90:91], v[48:49], v[90:91]
	v_add_f64 v[86:87], v[86:87], v[88:89]
	v_fma_f64 v[44:45], v[10:11], s[2:3], v[6:7]
	v_fma_f64 v[6:7], v[10:11], s[14:15], v[6:7]
	;; [unrolled: 1-line block ×6, first 2 shown]
	v_add_f64 v[2:3], v[46:47], v[50:51]
	v_add_f64 v[2:3], v[2:3], v[68:69]
	;; [unrolled: 1-line block ×5, first 2 shown]
	v_fma_f64 v[2:3], v[2:3], -0.5, v[46:47]
	v_fma_f64 v[10:11], v[76:77], s[2:3], v[2:3]
	v_fma_f64 v[2:3], v[76:77], s[14:15], v[2:3]
	;; [unrolled: 1-line block ×6, first 2 shown]
	v_add_f64 v[86:87], v[50:51], v[84:85]
	v_add_f64 v[50:51], v[68:69], -v[50:51]
	v_add_f64 v[68:69], v[70:71], -v[84:85]
	v_fma_f64 v[46:47], v[86:87], -0.5, v[46:47]
	v_add_f64 v[68:69], v[50:51], v[68:69]
	v_fma_f64 v[86:87], v[78:79], s[14:15], v[46:47]
	v_fma_f64 v[46:47], v[78:79], s[2:3], v[46:47]
	;; [unrolled: 1-line block ×6, first 2 shown]
	s_waitcnt vmcnt(0)
	ds_write_b128 v12, v[4:7]
	ds_write_b128 v12, v[8:11] offset:240
	ds_write_b128 v12, v[48:51] offset:480
	;; [unrolled: 1-line block ×4, first 2 shown]
	s_waitcnt lgkmcnt(0)
	s_barrier
	buffer_gl0_inv
	ds_read_b128 v[8:11], v134
	ds_read_b128 v[12:15], v134 offset:6000
	ds_read_b128 v[16:19], v134 offset:12000
	;; [unrolled: 1-line block ×29, first 2 shown]
	s_clause 0x3
	buffer_load_dword v72, off, s[28:31], 0 offset:600
	buffer_load_dword v73, off, s[28:31], 0 offset:604
	;; [unrolled: 1-line block ×4, first 2 shown]
	s_waitcnt vmcnt(0) lgkmcnt(28)
	v_mul_f64 v[64:65], v[74:75], v[14:15]
	v_fma_f64 v[132:133], v[72:73], v[12:13], v[64:65]
	s_clause 0x3
	buffer_load_dword v64, off, s[28:31], 0 offset:616
	buffer_load_dword v65, off, s[28:31], 0 offset:620
	;; [unrolled: 1-line block ×4, first 2 shown]
	v_mul_f64 v[12:13], v[74:75], v[12:13]
	v_fma_f64 v[12:13], v[72:73], v[14:15], -v[12:13]
	s_waitcnt vmcnt(0) lgkmcnt(27)
	v_mul_f64 v[14:15], v[66:67], v[18:19]
	v_fma_f64 v[160:161], v[64:65], v[16:17], v[14:15]
	v_mul_f64 v[14:15], v[66:67], v[16:17]
	v_fma_f64 v[16:17], v[64:65], v[18:19], -v[14:15]
	s_clause 0x3
	buffer_load_dword v64, off, s[28:31], 0 offset:632
	buffer_load_dword v65, off, s[28:31], 0 offset:636
	;; [unrolled: 1-line block ×4, first 2 shown]
	s_waitcnt vmcnt(0) lgkmcnt(26)
	v_mul_f64 v[14:15], v[66:67], v[22:23]
	v_fma_f64 v[18:19], v[64:65], v[20:21], v[14:15]
	v_mul_f64 v[14:15], v[66:67], v[20:21]
	v_fma_f64 v[14:15], v[64:65], v[22:23], -v[14:15]
	s_clause 0x3
	buffer_load_dword v64, off, s[28:31], 0 offset:648
	buffer_load_dword v65, off, s[28:31], 0 offset:652
	buffer_load_dword v66, off, s[28:31], 0 offset:656
	buffer_load_dword v67, off, s[28:31], 0 offset:660
	s_waitcnt vmcnt(0) lgkmcnt(25)
	v_mul_f64 v[20:21], v[66:67], v[26:27]
	v_mul_f64 v[22:23], v[66:67], v[24:25]
	v_fma_f64 v[20:21], v[64:65], v[24:25], v[20:21]
	v_fma_f64 v[22:23], v[64:65], v[26:27], -v[22:23]
	s_clause 0x3
	buffer_load_dword v64, off, s[28:31], 0 offset:668
	buffer_load_dword v65, off, s[28:31], 0 offset:672
	buffer_load_dword v66, off, s[28:31], 0 offset:676
	buffer_load_dword v67, off, s[28:31], 0 offset:680
	s_waitcnt vmcnt(0) lgkmcnt(24)
	v_mul_f64 v[24:25], v[66:67], v[30:31]
	v_mul_f64 v[26:27], v[66:67], v[28:29]
	v_fma_f64 v[24:25], v[64:65], v[28:29], v[24:25]
	;; [unrolled: 10-line block ×3, first 2 shown]
	v_fma_f64 v[30:31], v[64:65], v[34:35], -v[30:31]
	s_clause 0x3
	buffer_load_dword v64, off, s[28:31], 0 offset:716
	buffer_load_dword v65, off, s[28:31], 0 offset:720
	buffer_load_dword v66, off, s[28:31], 0 offset:724
	buffer_load_dword v67, off, s[28:31], 0 offset:728
	s_waitcnt vmcnt(0) lgkmcnt(22)
	v_mul_f64 v[32:33], v[66:67], v[38:39]
	v_fma_f64 v[162:163], v[64:65], v[36:37], v[32:33]
	v_mul_f64 v[32:33], v[66:67], v[36:37]
	v_fma_f64 v[164:165], v[64:65], v[38:39], -v[32:33]
	s_clause 0x3
	buffer_load_dword v36, off, s[28:31], 0 offset:732
	buffer_load_dword v37, off, s[28:31], 0 offset:736
	buffer_load_dword v38, off, s[28:31], 0 offset:740
	buffer_load_dword v39, off, s[28:31], 0 offset:744
	s_waitcnt vmcnt(0) lgkmcnt(21)
	v_mul_f64 v[32:33], v[38:39], v[42:43]
	v_fma_f64 v[34:35], v[36:37], v[40:41], v[32:33]
	v_mul_f64 v[32:33], v[38:39], v[40:41]
	;; [unrolled: 10-line block ×10, first 2 shown]
	v_add_f64 v[92:93], v[20:21], v[28:29]
	v_fma_f64 v[84:85], v[36:37], v[94:95], -v[32:33]
	s_clause 0x3
	buffer_load_dword v36, off, s[28:31], 0 offset:1028
	buffer_load_dword v37, off, s[28:31], 0 offset:1032
	;; [unrolled: 1-line block ×4, first 2 shown]
	v_fma_f64 v[94:95], v[92:93], -0.5, v[8:9]
	s_waitcnt vmcnt(0) lgkmcnt(11)
	v_mul_f64 v[32:33], v[38:39], v[106:107]
	v_fma_f64 v[114:115], v[36:37], v[104:105], v[32:33]
	v_mul_f64 v[32:33], v[38:39], v[104:105]
	v_add_f64 v[104:105], v[16:17], -v[166:167]
	v_fma_f64 v[112:113], v[36:37], v[106:107], -v[32:33]
	s_clause 0x3
	buffer_load_dword v36, off, s[28:31], 0 offset:1140
	buffer_load_dword v37, off, s[28:31], 0 offset:1144
	;; [unrolled: 1-line block ×4, first 2 shown]
	v_fma_f64 v[92:93], v[104:105], s[14:15], v[94:95]
	v_add_f64 v[106:107], v[160:161], -v[20:21]
	v_fma_f64 v[94:95], v[104:105], s[2:3], v[94:95]
	s_waitcnt vmcnt(0) lgkmcnt(10)
	v_mul_f64 v[32:33], v[38:39], v[118:119]
	v_fma_f64 v[96:97], v[36:37], v[116:117], v[32:33]
	v_mul_f64 v[32:33], v[38:39], v[116:117]
	v_add_f64 v[116:117], v[22:23], -v[30:31]
	v_fma_f64 v[88:89], v[36:37], v[118:119], -v[32:33]
	s_clause 0x3
	buffer_load_dword v36, off, s[28:31], 0 offset:1352
	buffer_load_dword v37, off, s[28:31], 0 offset:1356
	;; [unrolled: 1-line block ×4, first 2 shown]
	v_add_f64 v[118:119], v[34:35], -v[28:29]
	v_fma_f64 v[92:93], v[116:117], s[6:7], v[92:93]
	v_fma_f64 v[94:95], v[116:117], s[8:9], v[94:95]
	v_add_f64 v[106:107], v[106:107], v[118:119]
	v_add_f64 v[118:119], v[20:21], -v[160:161]
	v_fma_f64 v[92:93], v[106:107], s[4:5], v[92:93]
	v_fma_f64 v[106:107], v[106:107], s[4:5], v[94:95]
	v_add_f64 v[94:95], v[160:161], v[34:35]
	s_waitcnt vmcnt(0) lgkmcnt(8)
	v_mul_f64 v[32:33], v[38:39], v[122:123]
	v_fma_f64 v[44:45], v[36:37], v[120:121], v[32:33]
	v_mul_f64 v[32:33], v[38:39], v[120:121]
	s_clause 0x3
	buffer_load_dword v38, off, s[28:31], 0 offset:1368
	buffer_load_dword v39, off, s[28:31], 0 offset:1372
	;; [unrolled: 1-line block ×4, first 2 shown]
	v_add_f64 v[120:121], v[28:29], -v[34:35]
	v_fma_f64 v[36:37], v[36:37], v[122:123], -v[32:33]
	v_add_f64 v[118:119], v[118:119], v[120:121]
	v_add_f64 v[120:121], v[24:25], -v[18:19]
	s_waitcnt vmcnt(0) lgkmcnt(7)
	v_mul_f64 v[32:33], v[40:41], v[126:127]
	v_fma_f64 v[60:61], v[38:39], v[124:125], v[32:33]
	v_mul_f64 v[32:33], v[40:41], v[124:125]
	v_fma_f64 v[56:57], v[38:39], v[126:127], -v[32:33]
	s_clause 0xb
	buffer_load_dword v38, off, s[28:31], 0 offset:1384
	buffer_load_dword v39, off, s[28:31], 0 offset:1388
	;; [unrolled: 1-line block ×12, first 2 shown]
	v_add_f64 v[126:127], v[162:163], -v[168:169]
	v_add_f64 v[120:121], v[120:121], v[126:127]
	s_waitcnt vmcnt(8) lgkmcnt(6)
	v_mul_f64 v[32:33], v[40:41], v[130:131]
	v_fma_f64 v[42:43], v[38:39], v[128:129], v[32:33]
	v_mul_f64 v[32:33], v[40:41], v[128:129]
	v_fma_f64 v[38:39], v[38:39], v[130:131], -v[32:33]
	s_waitcnt vmcnt(4) lgkmcnt(5)
	v_mul_f64 v[32:33], v[48:49], v[138:139]
	v_fma_f64 v[64:65], v[46:47], v[136:137], v[32:33]
	v_mul_f64 v[32:33], v[48:49], v[136:137]
	v_fma_f64 v[58:59], v[46:47], v[138:139], -v[32:33]
	;; [unrolled: 5-line block ×3, first 2 shown]
	s_clause 0x3
	buffer_load_dword v50, off, s[28:31], 0 offset:1608
	buffer_load_dword v51, off, s[28:31], 0 offset:1612
	buffer_load_dword v52, off, s[28:31], 0 offset:1616
	buffer_load_dword v53, off, s[28:31], 0 offset:1620
	s_waitcnt vmcnt(0) lgkmcnt(3)
	v_mul_f64 v[32:33], v[52:53], v[146:147]
	v_fma_f64 v[70:71], v[50:51], v[144:145], v[32:33]
	v_mul_f64 v[32:33], v[52:53], v[144:145]
	s_clause 0x3
	buffer_load_dword v52, off, s[28:31], 0 offset:1640
	buffer_load_dword v53, off, s[28:31], 0 offset:1644
	;; [unrolled: 1-line block ×4, first 2 shown]
	v_fma_f64 v[62:63], v[50:51], v[146:147], -v[32:33]
	s_waitcnt vmcnt(0) lgkmcnt(2)
	v_mul_f64 v[32:33], v[54:55], v[150:151]
	v_fma_f64 v[50:51], v[52:53], v[148:149], v[32:33]
	v_mul_f64 v[32:33], v[54:55], v[148:149]
	v_fma_f64 v[46:47], v[52:53], v[150:151], -v[32:33]
	s_clause 0x3
	buffer_load_dword v52, off, s[28:31], 0 offset:1656
	buffer_load_dword v53, off, s[28:31], 0 offset:1660
	;; [unrolled: 1-line block ×4, first 2 shown]
	s_waitcnt vmcnt(0) lgkmcnt(0)
	s_barrier
	buffer_gl0_inv
	v_mul_f64 v[32:33], v[54:55], v[154:155]
	v_fma_f64 v[74:75], v[52:53], v[152:153], v[32:33]
	v_mul_f64 v[32:33], v[54:55], v[152:153]
	v_fma_f64 v[68:69], v[52:53], v[154:155], -v[32:33]
	v_mul_f64 v[32:33], v[254:255], v[158:159]
	v_fma_f64 v[54:55], v[252:253], v[156:157], v[32:33]
	v_mul_f64 v[32:33], v[254:255], v[156:157]
	v_fma_f64 v[52:53], v[252:253], v[158:159], -v[32:33]
	v_add_f64 v[32:33], v[8:9], v[160:161]
	v_fma_f64 v[8:9], v[94:95], -0.5, v[8:9]
	v_add_f64 v[32:33], v[32:33], v[20:21]
	v_fma_f64 v[94:95], v[116:117], s[2:3], v[8:9]
	v_fma_f64 v[8:9], v[116:117], s[14:15], v[8:9]
	v_add_f64 v[20:21], v[20:21], -v[28:29]
	v_add_f64 v[116:117], v[168:169], -v[162:163]
	v_add_f64 v[32:33], v[32:33], v[28:29]
	v_fma_f64 v[94:95], v[104:105], s[6:7], v[94:95]
	v_fma_f64 v[8:9], v[104:105], s[8:9], v[8:9]
	v_add_f64 v[104:105], v[160:161], -v[34:35]
	v_add_f64 v[32:33], v[32:33], v[34:35]
	v_fma_f64 v[122:123], v[118:119], s[4:5], v[94:95]
	v_fma_f64 v[118:119], v[118:119], s[4:5], v[8:9]
	v_add_f64 v[8:9], v[10:11], v[16:17]
	v_add_f64 v[94:95], v[166:167], -v[30:31]
	v_add_f64 v[8:9], v[8:9], v[22:23]
	v_add_f64 v[8:9], v[8:9], v[30:31]
	;; [unrolled: 1-line block ×4, first 2 shown]
	v_fma_f64 v[8:9], v[8:9], -0.5, v[10:11]
	v_fma_f64 v[34:35], v[104:105], s[2:3], v[8:9]
	v_fma_f64 v[8:9], v[104:105], s[14:15], v[8:9]
	v_fma_f64 v[28:29], v[20:21], s[8:9], v[34:35]
	v_add_f64 v[34:35], v[16:17], -v[22:23]
	v_fma_f64 v[8:9], v[20:21], s[6:7], v[8:9]
	v_add_f64 v[34:35], v[34:35], v[94:95]
	v_fma_f64 v[94:95], v[34:35], s[4:5], v[28:29]
	v_add_f64 v[28:29], v[16:17], v[166:167]
	v_add_f64 v[16:17], v[22:23], -v[16:17]
	v_add_f64 v[22:23], v[30:31], -v[166:167]
	v_fma_f64 v[8:9], v[34:35], s[4:5], v[8:9]
	v_add_f64 v[30:31], v[18:19], -v[24:25]
	v_fma_f64 v[10:11], v[28:29], -0.5, v[10:11]
	v_add_f64 v[16:17], v[16:17], v[22:23]
	v_add_f64 v[30:31], v[30:31], v[116:117]
	v_fma_f64 v[28:29], v[20:21], s[14:15], v[10:11]
	v_fma_f64 v[10:11], v[20:21], s[2:3], v[10:11]
	v_add_f64 v[20:21], v[14:15], -v[170:171]
	v_fma_f64 v[28:29], v[104:105], s[8:9], v[28:29]
	v_fma_f64 v[10:11], v[104:105], s[6:7], v[10:11]
	;; [unrolled: 1-line block ×4, first 2 shown]
	v_add_f64 v[16:17], v[132:133], v[18:19]
	v_add_f64 v[28:29], v[26:27], -v[164:165]
	v_add_f64 v[16:17], v[16:17], v[24:25]
	v_add_f64 v[16:17], v[16:17], v[162:163]
	;; [unrolled: 1-line block ×4, first 2 shown]
	v_add_f64 v[24:25], v[24:25], -v[162:163]
	v_fma_f64 v[16:17], v[16:17], -0.5, v[132:133]
	v_fma_f64 v[22:23], v[20:21], s[14:15], v[16:17]
	v_fma_f64 v[16:17], v[20:21], s[2:3], v[16:17]
	;; [unrolled: 1-line block ×6, first 2 shown]
	v_add_f64 v[16:17], v[18:19], v[168:169]
	v_add_f64 v[18:19], v[18:19], -v[168:169]
	v_fma_f64 v[16:17], v[16:17], -0.5, v[132:133]
	v_fma_f64 v[30:31], v[28:29], s[2:3], v[16:17]
	v_fma_f64 v[16:17], v[28:29], s[14:15], v[16:17]
	v_add_f64 v[28:29], v[14:15], -v[26:27]
	v_fma_f64 v[30:31], v[20:21], s[6:7], v[30:31]
	v_fma_f64 v[16:17], v[20:21], s[8:9], v[16:17]
	;; [unrolled: 1-line block ×4, first 2 shown]
	v_add_f64 v[16:17], v[12:13], v[14:15]
	v_add_f64 v[30:31], v[170:171], -v[164:165]
	v_add_f64 v[16:17], v[16:17], v[26:27]
	v_add_f64 v[28:29], v[28:29], v[30:31]
	;; [unrolled: 1-line block ×6, first 2 shown]
	v_fma_f64 v[16:17], v[16:17], -0.5, v[12:13]
	v_fma_f64 v[20:21], v[18:19], s[2:3], v[16:17]
	v_fma_f64 v[16:17], v[18:19], s[14:15], v[16:17]
	;; [unrolled: 1-line block ×6, first 2 shown]
	v_add_f64 v[16:17], v[14:15], v[170:171]
	v_add_f64 v[14:15], v[26:27], -v[14:15]
	v_add_f64 v[20:21], v[164:165], -v[170:171]
	v_add_f64 v[28:29], v[32:33], v[104:105]
	v_fma_f64 v[12:13], v[16:17], -0.5, v[12:13]
	v_add_f64 v[14:15], v[14:15], v[20:21]
	v_fma_f64 v[16:17], v[24:25], s[14:15], v[12:13]
	v_fma_f64 v[12:13], v[24:25], s[2:3], v[12:13]
	;; [unrolled: 1-line block ×4, first 2 shown]
	v_mul_f64 v[18:19], v[130:131], s[20:21]
	v_fma_f64 v[136:137], v[14:15], s[4:5], v[16:17]
	v_fma_f64 v[14:15], v[14:15], s[4:5], v[12:13]
	v_mul_f64 v[12:13], v[130:131], s[6:7]
	v_fma_f64 v[130:131], v[22:23], s[8:9], v[18:19]
	v_mul_f64 v[18:19], v[136:137], s[4:5]
	v_fma_f64 v[138:139], v[22:23], s[20:21], v[12:13]
	v_mul_f64 v[12:13], v[136:137], s[14:15]
	v_add_f64 v[26:27], v[94:95], v[130:131]
	v_add_f64 v[24:25], v[92:93], v[138:139]
	v_fma_f64 v[140:141], v[126:127], s[4:5], v[12:13]
	v_mul_f64 v[12:13], v[14:15], s[14:15]
	v_mul_f64 v[14:15], v[14:15], s[22:23]
	v_fma_f64 v[126:127], v[126:127], s[2:3], v[18:19]
	v_add_f64 v[20:21], v[122:123], v[140:141]
	v_fma_f64 v[142:143], v[120:121], s[22:23], v[12:13]
	v_mul_f64 v[12:13], v[132:133], s[6:7]
	v_fma_f64 v[136:137], v[120:121], s[2:3], v[14:15]
	v_mul_f64 v[14:15], v[132:133], s[24:25]
	v_add_f64 v[120:121], v[32:33], -v[104:105]
	v_add_f64 v[104:105], v[122:123], -v[140:141]
	;; [unrolled: 1-line block ×4, first 2 shown]
	v_add_f64 v[22:23], v[34:35], v[126:127]
	v_add_f64 v[128:129], v[100:101], -v[108:109]
	v_add_f64 v[16:17], v[118:119], v[142:143]
	v_fma_f64 v[144:145], v[116:117], s[24:25], v[12:13]
	v_add_f64 v[18:19], v[10:11], v[136:137]
	v_fma_f64 v[132:133], v[116:117], s[8:9], v[14:15]
	v_add_f64 v[116:117], v[92:93], -v[138:139]
	v_add_f64 v[92:93], v[118:119], -v[142:143]
	;; [unrolled: 1-line block ×4, first 2 shown]
	v_add_f64 v[10:11], v[102:103], v[110:111]
	v_add_f64 v[130:131], v[98:99], -v[102:103]
	v_add_f64 v[136:137], v[110:111], -v[114:115]
	v_add_f64 v[12:13], v[106:107], v[144:145]
	v_add_f64 v[32:33], v[106:107], -v[144:145]
	v_add_f64 v[14:15], v[8:9], v[132:133]
	v_add_f64 v[106:107], v[34:35], -v[126:127]
	v_add_f64 v[34:35], v[8:9], -v[132:133]
	;; [unrolled: 1-line block ×3, first 2 shown]
	v_add_f64 v[8:9], v[4:5], v[98:99]
	v_fma_f64 v[10:11], v[10:11], -0.5, v[4:5]
	v_add_f64 v[130:131], v[130:131], v[132:133]
	v_add_f64 v[8:9], v[8:9], v[102:103]
	v_fma_f64 v[126:127], v[124:125], s[14:15], v[10:11]
	v_fma_f64 v[10:11], v[124:125], s[2:3], v[10:11]
	v_add_f64 v[132:133], v[102:103], -v[98:99]
	v_add_f64 v[102:103], v[102:103], -v[110:111]
	v_add_f64 v[8:9], v[8:9], v[110:111]
	v_fma_f64 v[126:127], v[128:129], s[6:7], v[126:127]
	v_fma_f64 v[10:11], v[128:129], s[8:9], v[10:11]
	v_add_f64 v[132:133], v[132:133], v[136:137]
	v_add_f64 v[136:137], v[86:87], -v[96:97]
	v_add_f64 v[8:9], v[8:9], v[114:115]
	v_fma_f64 v[126:127], v[130:131], s[4:5], v[126:127]
	v_fma_f64 v[10:11], v[130:131], s[4:5], v[10:11]
	v_add_f64 v[130:131], v[98:99], v[114:115]
	v_add_f64 v[98:99], v[98:99], -v[114:115]
	v_fma_f64 v[4:5], v[130:131], -0.5, v[4:5]
	v_fma_f64 v[130:131], v[128:129], s[2:3], v[4:5]
	v_fma_f64 v[4:5], v[128:129], s[14:15], v[4:5]
	v_add_f64 v[128:129], v[100:101], v[108:109]
	v_fma_f64 v[130:131], v[124:125], s[6:7], v[130:131]
	v_fma_f64 v[4:5], v[124:125], s[8:9], v[4:5]
	v_fma_f64 v[128:129], v[128:129], -0.5, v[6:7]
	v_add_f64 v[124:125], v[6:7], v[90:91]
	v_fma_f64 v[130:131], v[132:133], s[4:5], v[130:131]
	v_fma_f64 v[4:5], v[132:133], s[4:5], v[4:5]
	;; [unrolled: 1-line block ×3, first 2 shown]
	v_add_f64 v[132:133], v[112:113], -v[108:109]
	v_fma_f64 v[128:129], v[98:99], s[14:15], v[128:129]
	v_add_f64 v[124:125], v[124:125], v[100:101]
	v_fma_f64 v[110:111], v[102:103], s[8:9], v[114:115]
	v_add_f64 v[114:115], v[90:91], -v[100:101]
	v_fma_f64 v[128:129], v[102:103], s[6:7], v[128:129]
	v_add_f64 v[124:125], v[124:125], v[108:109]
	v_add_f64 v[114:115], v[114:115], v[132:133]
	v_add_f64 v[132:133], v[96:97], -v[86:87]
	v_add_f64 v[124:125], v[124:125], v[112:113]
	v_fma_f64 v[110:111], v[114:115], s[4:5], v[110:111]
	v_fma_f64 v[114:115], v[114:115], s[4:5], v[128:129]
	v_add_f64 v[128:129], v[90:91], v[112:113]
	v_add_f64 v[90:91], v[100:101], -v[90:91]
	v_add_f64 v[100:101], v[108:109], -v[112:113]
	;; [unrolled: 1-line block ×3, first 2 shown]
	v_fma_f64 v[6:7], v[128:129], -0.5, v[6:7]
	v_add_f64 v[90:91], v[90:91], v[100:101]
	v_fma_f64 v[128:129], v[102:103], s[14:15], v[6:7]
	v_fma_f64 v[6:7], v[102:103], s[2:3], v[6:7]
	v_add_f64 v[102:103], v[72:73], -v[88:89]
	v_fma_f64 v[128:129], v[98:99], s[8:9], v[128:129]
	v_fma_f64 v[6:7], v[98:99], s[6:7], v[6:7]
	v_add_f64 v[98:99], v[82:83], v[86:87]
	v_fma_f64 v[100:101], v[90:91], s[4:5], v[128:129]
	v_add_f64 v[128:129], v[76:77], -v[82:83]
	v_fma_f64 v[98:99], v[98:99], -0.5, v[80:81]
	v_fma_f64 v[6:7], v[90:91], s[4:5], v[6:7]
	v_add_f64 v[90:91], v[80:81], v[76:77]
	v_add_f64 v[128:129], v[128:129], v[132:133]
	v_fma_f64 v[108:109], v[102:103], s[14:15], v[98:99]
	v_fma_f64 v[98:99], v[102:103], s[2:3], v[98:99]
	v_add_f64 v[90:91], v[90:91], v[82:83]
	v_add_f64 v[132:133], v[82:83], -v[76:77]
	v_add_f64 v[82:83], v[82:83], -v[86:87]
	v_fma_f64 v[108:109], v[112:113], s[6:7], v[108:109]
	v_fma_f64 v[98:99], v[112:113], s[8:9], v[98:99]
	v_add_f64 v[90:91], v[90:91], v[86:87]
	v_add_f64 v[132:133], v[132:133], v[136:137]
	v_fma_f64 v[108:109], v[128:129], s[4:5], v[108:109]
	v_fma_f64 v[98:99], v[128:129], s[4:5], v[98:99]
	v_add_f64 v[128:129], v[76:77], v[96:97]
	v_add_f64 v[76:77], v[76:77], -v[96:97]
	v_add_f64 v[90:91], v[90:91], v[96:97]
	v_fma_f64 v[80:81], v[128:129], -0.5, v[80:81]
	v_add_f64 v[176:177], v[8:9], v[90:91]
	v_add_f64 v[180:181], v[8:9], -v[90:91]
	v_add_f64 v[8:9], v[56:57], -v[68:69]
	v_fma_f64 v[128:129], v[112:113], s[2:3], v[80:81]
	v_fma_f64 v[80:81], v[112:113], s[14:15], v[80:81]
	v_add_f64 v[112:113], v[78:79], v[84:85]
	v_fma_f64 v[128:129], v[102:103], s[6:7], v[128:129]
	v_fma_f64 v[80:81], v[102:103], s[8:9], v[80:81]
	v_fma_f64 v[112:113], v[112:113], -0.5, v[66:67]
	v_add_f64 v[102:103], v[66:67], v[72:73]
	v_fma_f64 v[128:129], v[132:133], s[4:5], v[128:129]
	v_fma_f64 v[80:81], v[132:133], s[4:5], v[80:81]
	;; [unrolled: 1-line block ×3, first 2 shown]
	v_add_f64 v[132:133], v[88:89], -v[84:85]
	v_fma_f64 v[112:113], v[76:77], s[14:15], v[112:113]
	v_add_f64 v[102:103], v[102:103], v[78:79]
	v_fma_f64 v[86:87], v[82:83], s[8:9], v[96:97]
	v_add_f64 v[96:97], v[72:73], -v[78:79]
	v_fma_f64 v[112:113], v[82:83], s[6:7], v[112:113]
	v_add_f64 v[102:103], v[102:103], v[84:85]
	v_add_f64 v[96:97], v[96:97], v[132:133]
	;; [unrolled: 1-line block ×3, first 2 shown]
	v_fma_f64 v[86:87], v[96:97], s[4:5], v[86:87]
	v_fma_f64 v[96:97], v[96:97], s[4:5], v[112:113]
	v_add_f64 v[112:113], v[72:73], v[88:89]
	v_add_f64 v[72:73], v[78:79], -v[72:73]
	v_add_f64 v[78:79], v[84:85], -v[88:89]
	v_add_f64 v[178:179], v[124:125], v[102:103]
	v_add_f64 v[182:183], v[124:125], -v[102:103]
	v_mul_f64 v[84:85], v[96:97], s[6:7]
	v_fma_f64 v[66:67], v[112:113], -0.5, v[66:67]
	v_add_f64 v[72:73], v[72:73], v[78:79]
	v_fma_f64 v[84:85], v[98:99], s[24:25], v[84:85]
	v_fma_f64 v[112:113], v[82:83], s[14:15], v[66:67]
	;; [unrolled: 1-line block ×3, first 2 shown]
	v_add_f64 v[140:141], v[10:11], v[84:85]
	v_fma_f64 v[112:113], v[76:77], s[8:9], v[112:113]
	v_fma_f64 v[66:67], v[76:77], s[6:7], v[66:67]
	;; [unrolled: 1-line block ×4, first 2 shown]
	v_mul_f64 v[72:73], v[86:87], s[6:7]
	v_mul_f64 v[86:87], v[86:87], s[20:21]
	;; [unrolled: 1-line block ×6, first 2 shown]
	v_fma_f64 v[72:73], v[108:109], s[20:21], v[72:73]
	v_fma_f64 v[86:87], v[108:109], s[8:9], v[86:87]
	;; [unrolled: 1-line block ×6, first 2 shown]
	v_mul_f64 v[80:81], v[96:97], s[24:25]
	v_add_f64 v[168:169], v[126:127], v[72:73]
	v_add_f64 v[164:165], v[126:127], -v[72:73]
	v_add_f64 v[128:129], v[10:11], -v[84:85]
	;; [unrolled: 1-line block ×3, first 2 shown]
	v_add_f64 v[170:171], v[110:111], v[86:87]
	v_add_f64 v[166:167], v[110:111], -v[86:87]
	v_add_f64 v[160:161], v[130:131], v[76:77]
	v_add_f64 v[144:145], v[130:131], -v[76:77]
	v_add_f64 v[162:163], v[100:101], v[78:79]
	v_add_f64 v[158:159], v[6:7], v[66:67]
	v_add_f64 v[146:147], v[100:101], -v[78:79]
	v_add_f64 v[78:79], v[6:7], -v[66:67]
	v_add_f64 v[6:7], v[64:65], v[70:71]
	v_fma_f64 v[80:81], v[98:99], s[8:9], v[80:81]
	v_add_f64 v[66:67], v[58:59], -v[62:63]
	v_add_f64 v[156:157], v[4:5], v[82:83]
	v_add_f64 v[76:77], v[4:5], -v[82:83]
	v_add_f64 v[4:5], v[0:1], v[60:61]
	v_fma_f64 v[6:7], v[6:7], -0.5, v[0:1]
	v_add_f64 v[142:143], v[114:115], v[80:81]
	v_add_f64 v[130:131], v[114:115], -v[80:81]
	v_add_f64 v[80:81], v[74:75], -v[70:71]
	v_add_f64 v[4:5], v[4:5], v[64:65]
	v_fma_f64 v[10:11], v[8:9], s[14:15], v[6:7]
	v_fma_f64 v[6:7], v[8:9], s[2:3], v[6:7]
	v_add_f64 v[72:73], v[72:73], v[80:81]
	v_add_f64 v[80:81], v[70:71], -v[74:75]
	v_add_f64 v[4:5], v[4:5], v[70:71]
	v_fma_f64 v[10:11], v[66:67], s[6:7], v[10:11]
	v_fma_f64 v[6:7], v[66:67], s[8:9], v[6:7]
	v_add_f64 v[4:5], v[4:5], v[74:75]
	v_fma_f64 v[82:83], v[72:73], s[4:5], v[10:11]
	v_add_f64 v[10:11], v[60:61], v[74:75]
	v_fma_f64 v[6:7], v[72:73], s[4:5], v[6:7]
	v_add_f64 v[72:73], v[64:65], -v[60:61]
	v_add_f64 v[64:65], v[64:65], -v[70:71]
	;; [unrolled: 1-line block ×3, first 2 shown]
	v_fma_f64 v[0:1], v[10:11], -0.5, v[0:1]
	v_add_f64 v[72:73], v[72:73], v[80:81]
	v_fma_f64 v[10:11], v[66:67], s[2:3], v[0:1]
	v_fma_f64 v[0:1], v[66:67], s[14:15], v[0:1]
	;; [unrolled: 1-line block ×4, first 2 shown]
	v_add_f64 v[8:9], v[2:3], v[56:57]
	v_fma_f64 v[84:85], v[72:73], s[4:5], v[10:11]
	v_add_f64 v[10:11], v[60:61], -v[74:75]
	v_add_f64 v[8:9], v[8:9], v[58:59]
	v_fma_f64 v[0:1], v[72:73], s[4:5], v[0:1]
	v_add_f64 v[72:73], v[68:69], -v[62:63]
	v_add_f64 v[8:9], v[8:9], v[62:63]
	v_add_f64 v[70:71], v[70:71], v[72:73]
	v_add_f64 v[72:73], v[50:51], -v[54:55]
	v_add_f64 v[66:67], v[8:9], v[68:69]
	v_add_f64 v[8:9], v[58:59], v[62:63]
	v_fma_f64 v[8:9], v[8:9], -0.5, v[2:3]
	v_fma_f64 v[60:61], v[10:11], s[2:3], v[8:9]
	v_fma_f64 v[8:9], v[10:11], s[14:15], v[8:9]
	;; [unrolled: 1-line block ×6, first 2 shown]
	v_add_f64 v[8:9], v[56:57], v[68:69]
	v_add_f64 v[56:57], v[58:59], -v[56:57]
	v_add_f64 v[58:59], v[62:63], -v[68:69]
	;; [unrolled: 1-line block ×4, first 2 shown]
	v_fma_f64 v[2:3], v[8:9], -0.5, v[2:3]
	v_add_f64 v[56:57], v[56:57], v[58:59]
	v_fma_f64 v[8:9], v[64:65], s[14:15], v[2:3]
	v_fma_f64 v[2:3], v[64:65], s[2:3], v[2:3]
	v_add_f64 v[64:65], v[54:55], -v[50:51]
	v_fma_f64 v[8:9], v[10:11], s[8:9], v[8:9]
	v_fma_f64 v[2:3], v[10:11], s[6:7], v[2:3]
	v_add_f64 v[10:11], v[38:39], -v[52:53]
	v_add_f64 v[62:63], v[62:63], v[64:65]
	v_fma_f64 v[68:69], v[56:57], s[4:5], v[8:9]
	v_add_f64 v[8:9], v[44:45], v[42:43]
	v_fma_f64 v[2:3], v[56:57], s[4:5], v[2:3]
	v_add_f64 v[8:9], v[8:9], v[48:49]
	v_add_f64 v[8:9], v[8:9], v[50:51]
	;; [unrolled: 1-line block ×4, first 2 shown]
	v_fma_f64 v[8:9], v[8:9], -0.5, v[44:45]
	v_fma_f64 v[58:59], v[10:11], s[14:15], v[8:9]
	v_fma_f64 v[8:9], v[10:11], s[2:3], v[8:9]
	;; [unrolled: 1-line block ×6, first 2 shown]
	v_add_f64 v[8:9], v[42:43], v[54:55]
	v_add_f64 v[62:63], v[48:49], -v[42:43]
	v_add_f64 v[42:43], v[42:43], -v[54:55]
	;; [unrolled: 1-line block ×3, first 2 shown]
	v_fma_f64 v[8:9], v[8:9], -0.5, v[44:45]
	v_add_f64 v[62:63], v[62:63], v[72:73]
	v_add_f64 v[72:73], v[4:5], v[56:57]
	v_fma_f64 v[44:45], v[60:61], s[2:3], v[8:9]
	v_fma_f64 v[8:9], v[60:61], s[14:15], v[8:9]
	v_add_f64 v[60:61], v[52:53], -v[46:47]
	v_fma_f64 v[44:45], v[10:11], s[6:7], v[44:45]
	v_fma_f64 v[8:9], v[10:11], s[8:9], v[8:9]
	;; [unrolled: 1-line block ×4, first 2 shown]
	v_add_f64 v[8:9], v[36:37], v[38:39]
	v_add_f64 v[8:9], v[8:9], v[40:41]
	v_add_f64 v[8:9], v[8:9], v[46:47]
	v_add_f64 v[88:89], v[8:9], v[52:53]
	v_add_f64 v[8:9], v[40:41], v[46:47]
	v_add_f64 v[74:75], v[66:67], v[88:89]
	v_fma_f64 v[8:9], v[8:9], -0.5, v[36:37]
	v_fma_f64 v[54:55], v[42:43], s[2:3], v[8:9]
	v_fma_f64 v[8:9], v[42:43], s[14:15], v[8:9]
	;; [unrolled: 1-line block ×3, first 2 shown]
	v_add_f64 v[54:55], v[38:39], -v[40:41]
	v_fma_f64 v[8:9], v[48:49], s[6:7], v[8:9]
	v_add_f64 v[54:55], v[54:55], v[60:61]
	v_fma_f64 v[80:81], v[54:55], s[4:5], v[8:9]
	v_add_f64 v[8:9], v[38:39], v[52:53]
	v_add_f64 v[38:39], v[40:41], -v[38:39]
	v_add_f64 v[40:41], v[46:47], -v[52:53]
	v_fma_f64 v[50:51], v[54:55], s[4:5], v[50:51]
	v_fma_f64 v[8:9], v[8:9], -0.5, v[36:37]
	v_add_f64 v[38:39], v[38:39], v[40:41]
	v_fma_f64 v[36:37], v[48:49], s[14:15], v[8:9]
	v_fma_f64 v[8:9], v[48:49], s[2:3], v[8:9]
	;; [unrolled: 1-line block ×6, first 2 shown]
	v_mul_f64 v[8:9], v[50:51], s[6:7]
	v_mul_f64 v[50:51], v[50:51], s[20:21]
	v_fma_f64 v[40:41], v[58:59], s[20:21], v[8:9]
	v_mul_f64 v[8:9], v[36:37], s[14:15]
	v_mul_f64 v[36:37], v[36:37], s[4:5]
	v_fma_f64 v[58:59], v[58:59], s[8:9], v[50:51]
	v_add_f64 v[60:61], v[82:83], v[40:41]
	v_fma_f64 v[42:43], v[44:45], s[4:5], v[8:9]
	v_mul_f64 v[8:9], v[38:39], s[14:15]
	v_mul_f64 v[38:39], v[38:39], s[22:23]
	v_fma_f64 v[36:37], v[44:45], s[2:3], v[36:37]
	v_add_f64 v[62:63], v[86:87], v[58:59]
	v_add_f64 v[58:59], v[86:87], -v[58:59]
	v_add_f64 v[52:53], v[84:85], v[42:43]
	v_fma_f64 v[46:47], v[10:11], s[22:23], v[8:9]
	v_mul_f64 v[8:9], v[80:81], s[6:7]
	v_fma_f64 v[38:39], v[10:11], s[2:3], v[38:39]
	v_mul_f64 v[10:11], v[80:81], s[24:25]
	v_add_f64 v[54:55], v[68:69], v[36:37]
	v_add_f64 v[80:81], v[4:5], -v[56:57]
	v_add_f64 v[56:57], v[82:83], -v[40:41]
	;; [unrolled: 1-line block ×4, first 2 shown]
	v_add_f64 v[48:49], v[0:1], v[46:47]
	v_fma_f64 v[90:91], v[64:65], s[24:25], v[8:9]
	v_add_f64 v[50:51], v[2:3], v[38:39]
	v_fma_f64 v[64:65], v[64:65], s[8:9], v[10:11]
	v_add_f64 v[4:5], v[0:1], -v[46:47]
	v_add_f64 v[46:47], v[68:69], -v[36:37]
	v_add_f64 v[8:9], v[6:7], v[90:91]
	v_add_f64 v[0:1], v[6:7], -v[90:91]
	v_add_f64 v[10:11], v[70:71], v[64:65]
	v_add_f64 v[6:7], v[2:3], -v[38:39]
	v_add_f64 v[2:3], v[70:71], -v[64:65]
	ds_write_b128 v174, v[28:31]
	ds_write_b128 v174, v[24:27] offset:1200
	ds_write_b128 v174, v[20:23] offset:2400
	ds_write_b128 v174, v[16:19] offset:3600
	ds_write_b128 v174, v[12:15] offset:4800
	ds_write_b128 v174, v[120:123] offset:6000
	ds_write_b128 v174, v[116:119] offset:7200
	ds_write_b128 v174, v[104:107] offset:8400
	ds_write_b128 v174, v[92:95] offset:9600
	ds_write_b128 v174, v[32:35] offset:10800
	ds_write_b128 v135, v[176:179]
	ds_write_b128 v135, v[168:171] offset:1200
	ds_write_b128 v135, v[160:163] offset:2400
	ds_write_b128 v135, v[156:159] offset:3600
	ds_write_b128 v135, v[140:143] offset:4800
	ds_write_b128 v135, v[180:183] offset:6000
	ds_write_b128 v135, v[164:167] offset:7200
	ds_write_b128 v135, v[144:147] offset:8400
	ds_write_b128 v135, v[76:79] offset:9600
	ds_write_b128 v135, v[128:131] offset:10800
	;; [unrolled: 10-line block ×3, first 2 shown]
	s_waitcnt lgkmcnt(0)
	s_barrier
	buffer_gl0_inv
	ds_read_b128 v[20:23], v134
	ds_read_b128 v[60:63], v134 offset:12000
	ds_read_b128 v[64:67], v134 offset:24000
	;; [unrolled: 1-line block ×29, first 2 shown]
	s_clause 0x3
	buffer_load_dword v122, off, s[28:31], 0 offset:1208
	buffer_load_dword v123, off, s[28:31], 0 offset:1212
	;; [unrolled: 1-line block ×4, first 2 shown]
	s_waitcnt vmcnt(0) lgkmcnt(28)
	v_mul_f64 v[120:121], v[124:125], v[62:63]
	v_fma_f64 v[148:149], v[122:123], v[60:61], v[120:121]
	v_mul_f64 v[60:61], v[124:125], v[60:61]
	v_fma_f64 v[140:141], v[122:123], v[62:63], -v[60:61]
	s_clause 0x3
	buffer_load_dword v120, off, s[28:31], 0 offset:1192
	buffer_load_dword v121, off, s[28:31], 0 offset:1196
	;; [unrolled: 1-line block ×4, first 2 shown]
	s_waitcnt vmcnt(0) lgkmcnt(27)
	v_mul_f64 v[60:61], v[122:123], v[66:67]
	v_fma_f64 v[150:151], v[120:121], v[64:65], v[60:61]
	v_mul_f64 v[60:61], v[122:123], v[64:65]
	s_clause 0x3
	buffer_load_dword v62, off, s[28:31], 0 offset:1176
	buffer_load_dword v63, off, s[28:31], 0 offset:1180
	;; [unrolled: 1-line block ×4, first 2 shown]
	v_fma_f64 v[142:143], v[120:121], v[66:67], -v[60:61]
	s_waitcnt vmcnt(0) lgkmcnt(26)
	v_mul_f64 v[60:61], v[64:65], v[70:71]
	v_fma_f64 v[152:153], v[62:63], v[68:69], v[60:61]
	v_mul_f64 v[60:61], v[64:65], v[68:69]
	v_fma_f64 v[144:145], v[62:63], v[70:71], -v[60:61]
	s_clause 0x3
	buffer_load_dword v62, off, s[28:31], 0 offset:1160
	buffer_load_dword v63, off, s[28:31], 0 offset:1164
	;; [unrolled: 1-line block ×4, first 2 shown]
	s_waitcnt vmcnt(0) lgkmcnt(25)
	v_mul_f64 v[60:61], v[64:65], v[74:75]
	v_fma_f64 v[154:155], v[62:63], v[72:73], v[60:61]
	v_mul_f64 v[60:61], v[64:65], v[72:73]
	v_fma_f64 v[156:157], v[62:63], v[74:75], -v[60:61]
	s_clause 0x3
	buffer_load_dword v62, off, s[28:31], 0 offset:1432
	buffer_load_dword v63, off, s[28:31], 0 offset:1436
	;; [unrolled: 1-line block ×4, first 2 shown]
	s_waitcnt vmcnt(0) lgkmcnt(23)
	v_mul_f64 v[60:61], v[64:65], v[78:79]
	v_fma_f64 v[132:133], v[62:63], v[76:77], v[60:61]
	v_mul_f64 v[60:61], v[64:65], v[76:77]
	s_clause 0x3
	buffer_load_dword v64, off, s[28:31], 0 offset:1448
	buffer_load_dword v65, off, s[28:31], 0 offset:1452
	;; [unrolled: 1-line block ×4, first 2 shown]
	v_fma_f64 v[60:61], v[62:63], v[78:79], -v[60:61]
	s_waitcnt vmcnt(0) lgkmcnt(22)
	v_mul_f64 v[62:63], v[66:67], v[82:83]
	v_fma_f64 v[146:147], v[64:65], v[80:81], v[62:63]
	v_mul_f64 v[62:63], v[66:67], v[80:81]
	s_clause 0x7
	buffer_load_dword v66, off, s[28:31], 0 offset:1416
	buffer_load_dword v67, off, s[28:31], 0 offset:1420
	;; [unrolled: 1-line block ×8, first 2 shown]
	v_fma_f64 v[64:65], v[64:65], v[82:83], -v[62:63]
	s_waitcnt lgkmcnt(13)
	v_mul_f64 v[82:83], v[238:239], v[108:109]
	s_waitcnt vmcnt(4)
	v_mul_f64 v[62:63], v[68:69], v[86:87]
	v_fma_f64 v[136:137], v[66:67], v[84:85], v[62:63]
	v_mul_f64 v[62:63], v[68:69], v[84:85]
	v_fma_f64 v[68:69], v[66:67], v[86:87], -v[62:63]
	s_waitcnt vmcnt(0)
	v_mul_f64 v[62:63], v[72:73], v[90:91]
	v_fma_f64 v[138:139], v[70:71], v[88:89], v[62:63]
	v_mul_f64 v[62:63], v[72:73], v[88:89]
	v_fma_f64 v[130:131], v[70:71], v[90:91], -v[62:63]
	s_clause 0x7
	buffer_load_dword v70, off, s[28:31], 0 offset:1676
	buffer_load_dword v71, off, s[28:31], 0 offset:1680
	;; [unrolled: 1-line block ×8, first 2 shown]
	s_waitcnt lgkmcnt(11)
	v_mul_f64 v[90:91], v[246:247], v[118:119]
	s_waitcnt vmcnt(4)
	v_mul_f64 v[62:63], v[72:73], v[94:95]
	v_mul_f64 v[66:67], v[72:73], v[92:93]
	s_waitcnt vmcnt(0)
	v_mul_f64 v[72:73], v[76:77], v[96:97]
	v_fma_f64 v[62:63], v[70:71], v[92:93], v[62:63]
	v_fma_f64 v[70:71], v[70:71], v[94:95], -v[66:67]
	v_mul_f64 v[66:67], v[76:77], v[98:99]
	s_clause 0x7
	buffer_load_dword v76, off, s[28:31], 0 offset:1708
	buffer_load_dword v77, off, s[28:31], 0 offset:1712
	;; [unrolled: 1-line block ×8, first 2 shown]
	v_fma_f64 v[72:73], v[74:75], v[98:99], -v[72:73]
	v_fma_f64 v[66:67], v[74:75], v[96:97], v[66:67]
	v_fma_f64 v[96:97], v[244:245], v[116:117], v[90:91]
	v_mul_f64 v[90:91], v[246:247], v[116:117]
	v_fma_f64 v[90:91], v[244:245], v[118:119], -v[90:91]
	s_waitcnt vmcnt(4)
	v_mul_f64 v[74:75], v[78:79], v[102:103]
	v_fma_f64 v[80:81], v[76:77], v[100:101], v[74:75]
	v_mul_f64 v[74:75], v[78:79], v[100:101]
	v_mul_f64 v[78:79], v[238:239], v[110:111]
	v_fma_f64 v[74:75], v[76:77], v[102:103], -v[74:75]
	s_waitcnt vmcnt(0)
	v_mul_f64 v[76:77], v[88:89], v[106:107]
	v_fma_f64 v[78:79], v[236:237], v[108:109], v[78:79]
	v_fma_f64 v[84:85], v[86:87], v[104:105], v[76:77]
	v_mul_f64 v[76:77], v[88:89], v[104:105]
	s_clause 0x3
	buffer_load_dword v102, off, s[28:31], 0 offset:1808
	buffer_load_dword v103, off, s[28:31], 0 offset:1812
	;; [unrolled: 1-line block ×4, first 2 shown]
	v_mul_f64 v[88:89], v[242:243], v[112:113]
	v_fma_f64 v[76:77], v[86:87], v[106:107], -v[76:77]
	v_fma_f64 v[86:87], v[236:237], v[110:111], -v[82:83]
	v_mul_f64 v[82:83], v[242:243], v[114:115]
	v_fma_f64 v[88:89], v[240:241], v[114:115], -v[88:89]
	v_fma_f64 v[82:83], v[240:241], v[112:113], v[82:83]
	s_waitcnt vmcnt(0) lgkmcnt(10)
	v_mul_f64 v[92:93], v[104:105], v[58:59]
	v_fma_f64 v[100:101], v[102:103], v[56:57], v[92:93]
	v_mul_f64 v[56:57], v[104:105], v[56:57]
	v_fma_f64 v[92:93], v[102:103], v[58:59], -v[56:57]
	s_waitcnt lgkmcnt(8)
	v_mul_f64 v[56:57], v[218:219], v[50:51]
	v_add_f64 v[58:59], v[146:147], -v[136:137]
	v_fma_f64 v[94:95], v[216:217], v[48:49], v[56:57]
	v_mul_f64 v[48:49], v[218:219], v[48:49]
	v_add_f64 v[56:57], v[132:133], -v[138:139]
	v_fma_f64 v[102:103], v[216:217], v[50:51], -v[48:49]
	s_waitcnt lgkmcnt(7)
	v_mul_f64 v[48:49], v[222:223], v[42:43]
	v_add_f64 v[50:51], v[136:137], -v[138:139]
	v_fma_f64 v[98:99], v[220:221], v[40:41], v[48:49]
	v_mul_f64 v[40:41], v[222:223], v[40:41]
	v_add_f64 v[48:49], v[138:139], -v[136:137]
	;; [unrolled: 7-line block ×3, first 2 shown]
	v_fma_f64 v[122:123], v[224:225], v[34:35], -v[32:33]
	s_waitcnt lgkmcnt(5)
	v_mul_f64 v[32:33], v[230:231], v[14:15]
	v_add_f64 v[34:35], v[150:151], -v[152:153]
	v_add_f64 v[48:49], v[40:41], v[48:49]
	v_fma_f64 v[128:129], v[228:229], v[12:13], v[32:33]
	v_mul_f64 v[12:13], v[230:231], v[12:13]
	v_add_f64 v[32:33], v[148:149], -v[154:155]
	v_fma_f64 v[124:125], v[228:229], v[14:15], -v[12:13]
	s_waitcnt lgkmcnt(3)
	v_mul_f64 v[12:13], v[186:187], v[38:39]
	v_add_f64 v[14:15], v[140:141], -v[156:157]
	v_fma_f64 v[112:113], v[184:185], v[36:37], v[12:13]
	v_mul_f64 v[12:13], v[186:187], v[36:37]
	v_add_f64 v[36:37], v[156:157], -v[144:145]
	v_fma_f64 v[104:105], v[184:185], v[38:39], -v[12:13]
	s_waitcnt lgkmcnt(2)
	v_mul_f64 v[12:13], v[194:195], v[26:27]
	v_add_f64 v[38:39], v[144:145], -v[156:157]
	;; [unrolled: 7-line block ×4, first 2 shown]
	v_add_f64 v[24:25], v[16:17], v[24:25]
	v_fma_f64 v[118:119], v[212:213], v[8:9], v[12:13]
	v_mul_f64 v[8:9], v[214:215], v[8:9]
	v_fma_f64 v[110:111], v[212:213], v[10:11], -v[8:9]
	v_add_f64 v[10:11], v[150:151], v[152:153]
	v_add_f64 v[8:9], v[20:21], v[148:149]
	v_fma_f64 v[10:11], v[10:11], -0.5, v[20:21]
	v_add_f64 v[8:9], v[8:9], v[150:151]
	v_fma_f64 v[12:13], v[14:15], s[14:15], v[10:11]
	v_fma_f64 v[10:11], v[14:15], s[2:3], v[10:11]
	v_add_f64 v[8:9], v[8:9], v[152:153]
	v_fma_f64 v[12:13], v[18:19], s[6:7], v[12:13]
	v_fma_f64 v[10:11], v[18:19], s[8:9], v[10:11]
	;; [unrolled: 3-line block ×3, first 2 shown]
	v_add_f64 v[10:11], v[148:149], v[154:155]
	v_add_f64 v[24:25], v[150:151], -v[148:149]
	v_fma_f64 v[10:11], v[10:11], -0.5, v[20:21]
	v_add_f64 v[26:27], v[24:25], v[26:27]
	v_fma_f64 v[20:21], v[18:19], s[2:3], v[10:11]
	v_fma_f64 v[10:11], v[18:19], s[14:15], v[10:11]
	;; [unrolled: 1-line block ×4, first 2 shown]
	v_add_f64 v[14:15], v[142:143], v[144:145]
	v_fma_f64 v[24:25], v[26:27], s[4:5], v[20:21]
	v_fma_f64 v[20:21], v[26:27], s[4:5], v[10:11]
	v_fma_f64 v[14:15], v[14:15], -0.5, v[22:23]
	v_add_f64 v[26:27], v[140:141], -v[142:143]
	v_add_f64 v[10:11], v[22:23], v[140:141]
	v_fma_f64 v[18:19], v[32:33], s[2:3], v[14:15]
	v_fma_f64 v[14:15], v[32:33], s[14:15], v[14:15]
	v_add_f64 v[26:27], v[26:27], v[36:37]
	v_add_f64 v[36:37], v[142:143], -v[140:141]
	v_add_f64 v[10:11], v[10:11], v[142:143]
	v_fma_f64 v[18:19], v[34:35], s[8:9], v[18:19]
	v_fma_f64 v[14:15], v[34:35], s[6:7], v[14:15]
	v_add_f64 v[36:37], v[36:37], v[38:39]
	;; [unrolled: 5-line block ×3, first 2 shown]
	v_add_f64 v[10:11], v[10:11], v[156:157]
	v_fma_f64 v[22:23], v[26:27], -0.5, v[22:23]
	v_fma_f64 v[26:27], v[34:35], s[14:15], v[22:23]
	v_fma_f64 v[22:23], v[34:35], s[2:3], v[22:23]
	v_add_f64 v[34:35], v[146:147], v[136:137]
	v_fma_f64 v[26:27], v[32:33], s[8:9], v[26:27]
	v_fma_f64 v[22:23], v[32:33], s[6:7], v[22:23]
	v_fma_f64 v[34:35], v[34:35], -0.5, v[44:45]
	v_add_f64 v[32:33], v[44:45], v[132:133]
	v_fma_f64 v[26:27], v[36:37], s[4:5], v[26:27]
	v_fma_f64 v[22:23], v[36:37], s[4:5], v[22:23]
	;; [unrolled: 1-line block ×4, first 2 shown]
	v_add_f64 v[32:33], v[32:33], v[146:147]
	v_fma_f64 v[36:37], v[42:43], s[6:7], v[36:37]
	v_fma_f64 v[34:35], v[42:43], s[8:9], v[34:35]
	v_add_f64 v[32:33], v[32:33], v[136:137]
	v_add_f64 v[135:136], v[80:81], -v[84:85]
	v_fma_f64 v[40:41], v[48:49], s[4:5], v[36:37]
	v_fma_f64 v[36:37], v[48:49], s[4:5], v[34:35]
	v_add_f64 v[34:35], v[132:133], v[138:139]
	v_add_f64 v[48:49], v[146:147], -v[132:133]
	v_add_f64 v[132:133], v[130:131], -v[68:69]
	v_add_f64 v[32:33], v[32:33], v[138:139]
	v_fma_f64 v[34:35], v[34:35], -0.5, v[44:45]
	v_add_f64 v[50:51], v[48:49], v[50:51]
	v_fma_f64 v[44:45], v[42:43], s[2:3], v[34:35]
	v_fma_f64 v[34:35], v[42:43], s[14:15], v[34:35]
	;; [unrolled: 1-line block ×4, first 2 shown]
	v_add_f64 v[38:39], v[64:65], v[68:69]
	v_fma_f64 v[48:49], v[50:51], s[4:5], v[44:45]
	v_fma_f64 v[44:45], v[50:51], s[4:5], v[34:35]
	v_fma_f64 v[38:39], v[38:39], -0.5, v[46:47]
	v_add_f64 v[50:51], v[60:61], -v[64:65]
	v_add_f64 v[34:35], v[46:47], v[60:61]
	v_fma_f64 v[42:43], v[56:57], s[2:3], v[38:39]
	v_fma_f64 v[38:39], v[56:57], s[14:15], v[38:39]
	v_add_f64 v[50:51], v[50:51], v[132:133]
	v_add_f64 v[34:35], v[34:35], v[64:65]
	v_add_f64 v[132:133], v[84:85], -v[80:81]
	v_fma_f64 v[42:43], v[58:59], s[8:9], v[42:43]
	v_fma_f64 v[38:39], v[58:59], s[6:7], v[38:39]
	v_add_f64 v[34:35], v[34:35], v[68:69]
	v_fma_f64 v[42:43], v[50:51], s[4:5], v[42:43]
	v_fma_f64 v[38:39], v[50:51], s[4:5], v[38:39]
	v_add_f64 v[50:51], v[60:61], v[130:131]
	v_add_f64 v[60:61], v[64:65], -v[60:61]
	v_add_f64 v[64:65], v[68:69], -v[130:131]
	;; [unrolled: 1-line block ×3, first 2 shown]
	v_add_f64 v[34:35], v[34:35], v[130:131]
	v_add_f64 v[130:131], v[72:73], -v[74:75]
	v_fma_f64 v[46:47], v[50:51], -0.5, v[46:47]
	v_add_f64 v[60:61], v[60:61], v[64:65]
	v_add_f64 v[64:65], v[62:63], -v[66:67]
	v_fma_f64 v[50:51], v[58:59], s[14:15], v[46:47]
	v_fma_f64 v[46:47], v[58:59], s[2:3], v[46:47]
	v_add_f64 v[58:59], v[66:67], v[80:81]
	v_add_f64 v[132:133], v[64:65], v[132:133]
	v_fma_f64 v[50:51], v[56:57], s[8:9], v[50:51]
	v_fma_f64 v[46:47], v[56:57], s[6:7], v[46:47]
	v_fma_f64 v[58:59], v[58:59], -0.5, v[52:53]
	v_add_f64 v[56:57], v[52:53], v[62:63]
	v_fma_f64 v[50:51], v[60:61], s[4:5], v[50:51]
	v_fma_f64 v[46:47], v[60:61], s[4:5], v[46:47]
	v_fma_f64 v[60:61], v[68:69], s[14:15], v[58:59]
	v_fma_f64 v[58:59], v[68:69], s[2:3], v[58:59]
	v_add_f64 v[56:57], v[56:57], v[66:67]
	v_fma_f64 v[60:61], v[130:131], s[6:7], v[60:61]
	v_fma_f64 v[58:59], v[130:131], s[8:9], v[58:59]
	v_add_f64 v[56:57], v[56:57], v[80:81]
	v_add_f64 v[80:81], v[66:67], -v[80:81]
	v_fma_f64 v[64:65], v[132:133], s[4:5], v[60:61]
	v_fma_f64 v[60:61], v[132:133], s[4:5], v[58:59]
	v_add_f64 v[58:59], v[62:63], v[84:85]
	v_add_f64 v[132:133], v[66:67], -v[62:63]
	v_add_f64 v[56:57], v[56:57], v[84:85]
	v_add_f64 v[84:85], v[62:63], -v[84:85]
	v_add_f64 v[66:67], v[70:71], -v[72:73]
	v_fma_f64 v[58:59], v[58:59], -0.5, v[52:53]
	v_add_f64 v[132:133], v[132:133], v[135:136]
	v_add_f64 v[135:136], v[96:97], -v[100:101]
	v_fma_f64 v[52:53], v[130:131], s[2:3], v[58:59]
	v_fma_f64 v[58:59], v[130:131], s[14:15], v[58:59]
	v_add_f64 v[130:131], v[72:73], v[74:75]
	v_fma_f64 v[52:53], v[68:69], s[6:7], v[52:53]
	v_fma_f64 v[58:59], v[68:69], s[8:9], v[58:59]
	v_fma_f64 v[130:131], v[130:131], -0.5, v[54:55]
	v_fma_f64 v[52:53], v[132:133], s[4:5], v[52:53]
	v_fma_f64 v[68:69], v[132:133], s[4:5], v[58:59]
	;; [unrolled: 1-line block ×3, first 2 shown]
	v_add_f64 v[132:133], v[76:77], -v[74:75]
	v_add_f64 v[58:59], v[54:55], v[70:71]
	v_fma_f64 v[62:63], v[80:81], s[8:9], v[62:63]
	v_add_f64 v[132:133], v[66:67], v[132:133]
	v_add_f64 v[58:59], v[58:59], v[72:73]
	v_fma_f64 v[66:67], v[132:133], s[4:5], v[62:63]
	v_fma_f64 v[62:63], v[84:85], s[14:15], v[130:131]
	v_add_f64 v[130:131], v[70:71], v[76:77]
	v_add_f64 v[58:59], v[58:59], v[74:75]
	v_add_f64 v[70:71], v[72:73], -v[70:71]
	v_add_f64 v[72:73], v[74:75], -v[76:77]
	v_add_f64 v[74:75], v[82:83], v[96:97]
	v_fma_f64 v[62:63], v[80:81], s[6:7], v[62:63]
	v_fma_f64 v[130:131], v[130:131], -0.5, v[54:55]
	v_add_f64 v[58:59], v[58:59], v[76:77]
	v_add_f64 v[70:71], v[70:71], v[72:73]
	v_fma_f64 v[74:75], v[74:75], -0.5, v[28:29]
	v_fma_f64 v[62:63], v[132:133], s[4:5], v[62:63]
	v_fma_f64 v[54:55], v[80:81], s[14:15], v[130:131]
	;; [unrolled: 1-line block ×3, first 2 shown]
	v_add_f64 v[130:131], v[86:87], -v[92:93]
	v_add_f64 v[132:133], v[88:89], -v[90:91]
	;; [unrolled: 1-line block ×3, first 2 shown]
	v_fma_f64 v[54:55], v[84:85], s[8:9], v[54:55]
	v_fma_f64 v[72:73], v[84:85], s[6:7], v[72:73]
	;; [unrolled: 1-line block ×3, first 2 shown]
	v_add_f64 v[84:85], v[100:101], -v[96:97]
	v_fma_f64 v[74:75], v[130:131], s[2:3], v[74:75]
	v_fma_f64 v[54:55], v[70:71], s[4:5], v[54:55]
	;; [unrolled: 1-line block ×4, first 2 shown]
	v_add_f64 v[84:85], v[80:81], v[84:85]
	v_fma_f64 v[74:75], v[132:133], s[8:9], v[74:75]
	v_add_f64 v[72:73], v[28:29], v[78:79]
	v_fma_f64 v[80:81], v[84:85], s[4:5], v[76:77]
	v_fma_f64 v[76:77], v[84:85], s[4:5], v[74:75]
	v_add_f64 v[74:75], v[78:79], v[100:101]
	v_add_f64 v[72:73], v[72:73], v[82:83]
	v_add_f64 v[84:85], v[82:83], -v[78:79]
	v_fma_f64 v[28:29], v[74:75], -0.5, v[28:29]
	v_add_f64 v[72:73], v[72:73], v[96:97]
	v_add_f64 v[96:97], v[82:83], -v[96:97]
	v_add_f64 v[82:83], v[86:87], -v[88:89]
	v_add_f64 v[135:136], v[84:85], v[135:136]
	v_fma_f64 v[74:75], v[132:133], s[2:3], v[28:29]
	v_fma_f64 v[28:29], v[132:133], s[14:15], v[28:29]
	v_add_f64 v[72:73], v[72:73], v[100:101]
	v_add_f64 v[100:101], v[78:79], -v[100:101]
	v_add_f64 v[132:133], v[92:93], -v[90:91]
	v_fma_f64 v[74:75], v[130:131], s[6:7], v[74:75]
	v_fma_f64 v[28:29], v[130:131], s[8:9], v[28:29]
	v_add_f64 v[130:131], v[88:89], v[90:91]
	v_add_f64 v[132:133], v[82:83], v[132:133]
	v_fma_f64 v[84:85], v[135:136], s[4:5], v[74:75]
	v_add_f64 v[74:75], v[30:31], v[86:87]
	v_fma_f64 v[130:131], v[130:131], -0.5, v[30:31]
	v_fma_f64 v[28:29], v[135:136], s[4:5], v[28:29]
	v_add_f64 v[135:136], v[126:127], -v[128:129]
	v_add_f64 v[74:75], v[74:75], v[88:89]
	v_fma_f64 v[78:79], v[100:101], s[2:3], v[130:131]
	v_add_f64 v[74:75], v[74:75], v[90:91]
	v_fma_f64 v[78:79], v[96:97], s[8:9], v[78:79]
	;; [unrolled: 2-line block ×3, first 2 shown]
	v_fma_f64 v[78:79], v[100:101], s[14:15], v[130:131]
	v_add_f64 v[130:131], v[86:87], v[92:93]
	v_add_f64 v[86:87], v[88:89], -v[86:87]
	v_add_f64 v[88:89], v[90:91], -v[92:93]
	v_add_f64 v[90:91], v[98:99], v[126:127]
	v_fma_f64 v[78:79], v[96:97], s[6:7], v[78:79]
	v_fma_f64 v[30:31], v[130:131], -0.5, v[30:31]
	v_add_f64 v[88:89], v[86:87], v[88:89]
	v_fma_f64 v[90:91], v[90:91], -0.5, v[4:5]
	v_fma_f64 v[78:79], v[132:133], s[4:5], v[78:79]
	v_fma_f64 v[130:131], v[96:97], s[14:15], v[30:31]
	;; [unrolled: 1-line block ×3, first 2 shown]
	v_add_f64 v[132:133], v[120:121], -v[122:123]
	v_add_f64 v[96:97], v[94:95], -v[98:99]
	v_fma_f64 v[130:131], v[100:101], s[8:9], v[130:131]
	v_fma_f64 v[30:31], v[100:101], s[6:7], v[30:31]
	v_add_f64 v[100:101], v[128:129], -v[126:127]
	v_fma_f64 v[86:87], v[88:89], s[4:5], v[130:131]
	v_add_f64 v[130:131], v[102:103], -v[124:125]
	v_add_f64 v[100:101], v[96:97], v[100:101]
	v_fma_f64 v[30:31], v[88:89], s[4:5], v[30:31]
	v_add_f64 v[88:89], v[4:5], v[94:95]
	v_fma_f64 v[92:93], v[130:131], s[14:15], v[90:91]
	v_fma_f64 v[90:91], v[130:131], s[2:3], v[90:91]
	v_add_f64 v[88:89], v[88:89], v[98:99]
	v_fma_f64 v[92:93], v[132:133], s[6:7], v[92:93]
	v_fma_f64 v[90:91], v[132:133], s[8:9], v[90:91]
	v_add_f64 v[88:89], v[88:89], v[126:127]
	v_add_f64 v[126:127], v[98:99], -v[126:127]
	v_fma_f64 v[96:97], v[100:101], s[4:5], v[92:93]
	v_fma_f64 v[92:93], v[100:101], s[4:5], v[90:91]
	v_add_f64 v[90:91], v[94:95], v[128:129]
	v_add_f64 v[88:89], v[88:89], v[128:129]
	v_add_f64 v[128:129], v[94:95], -v[128:129]
	v_add_f64 v[100:101], v[98:99], -v[94:95]
	;; [unrolled: 1-line block ×3, first 2 shown]
	v_fma_f64 v[4:5], v[90:91], -0.5, v[4:5]
	v_add_f64 v[135:136], v[100:101], v[135:136]
	v_fma_f64 v[90:91], v[132:133], s[2:3], v[4:5]
	v_fma_f64 v[4:5], v[132:133], s[14:15], v[4:5]
	v_add_f64 v[132:133], v[124:125], -v[122:123]
	v_fma_f64 v[90:91], v[130:131], s[6:7], v[90:91]
	v_fma_f64 v[4:5], v[130:131], s[8:9], v[4:5]
	v_add_f64 v[130:131], v[120:121], v[122:123]
	v_add_f64 v[132:133], v[98:99], v[132:133]
	v_fma_f64 v[100:101], v[135:136], s[4:5], v[90:91]
	v_add_f64 v[90:91], v[6:7], v[102:103]
	v_fma_f64 v[130:131], v[130:131], -0.5, v[6:7]
	v_fma_f64 v[4:5], v[135:136], s[4:5], v[4:5]
	v_add_f64 v[135:136], v[116:117], -v[118:119]
	v_add_f64 v[90:91], v[90:91], v[120:121]
	v_fma_f64 v[94:95], v[128:129], s[2:3], v[130:131]
	v_add_f64 v[90:91], v[90:91], v[122:123]
	v_fma_f64 v[94:95], v[126:127], s[8:9], v[94:95]
	;; [unrolled: 2-line block ×3, first 2 shown]
	v_fma_f64 v[94:95], v[128:129], s[14:15], v[130:131]
	v_add_f64 v[130:131], v[102:103], v[124:125]
	v_add_f64 v[102:103], v[120:121], -v[102:103]
	v_add_f64 v[120:121], v[122:123], -v[124:125]
	v_add_f64 v[122:123], v[114:115], v[116:117]
	v_fma_f64 v[94:95], v[126:127], s[6:7], v[94:95]
	v_fma_f64 v[6:7], v[130:131], -0.5, v[6:7]
	v_add_f64 v[120:121], v[102:103], v[120:121]
	v_fma_f64 v[122:123], v[122:123], -0.5, v[0:1]
	v_fma_f64 v[94:95], v[132:133], s[4:5], v[94:95]
	v_fma_f64 v[130:131], v[126:127], s[14:15], v[6:7]
	;; [unrolled: 1-line block ×3, first 2 shown]
	v_add_f64 v[126:127], v[104:105], -v[110:111]
	v_add_f64 v[132:133], v[118:119], -v[116:117]
	v_fma_f64 v[130:131], v[128:129], s[8:9], v[130:131]
	v_fma_f64 v[6:7], v[128:129], s[6:7], v[6:7]
	;; [unrolled: 1-line block ×3, first 2 shown]
	v_add_f64 v[128:129], v[112:113], -v[114:115]
	v_fma_f64 v[122:123], v[126:127], s[2:3], v[122:123]
	v_fma_f64 v[102:103], v[120:121], s[4:5], v[130:131]
	v_add_f64 v[130:131], v[106:107], -v[108:109]
	v_fma_f64 v[6:7], v[120:121], s[4:5], v[6:7]
	v_add_f64 v[128:129], v[128:129], v[132:133]
	v_add_f64 v[120:121], v[0:1], v[112:113]
	v_add_f64 v[132:133], v[114:115], -v[112:113]
	v_fma_f64 v[124:125], v[130:131], s[6:7], v[124:125]
	v_fma_f64 v[122:123], v[130:131], s[8:9], v[122:123]
	v_add_f64 v[120:121], v[120:121], v[114:115]
	v_add_f64 v[114:115], v[114:115], -v[116:117]
	v_add_f64 v[132:133], v[132:133], v[135:136]
	v_fma_f64 v[124:125], v[128:129], s[4:5], v[124:125]
	v_fma_f64 v[128:129], v[128:129], s[4:5], v[122:123]
	v_add_f64 v[122:123], v[112:113], v[118:119]
	v_add_f64 v[120:121], v[120:121], v[116:117]
	v_add_f64 v[112:113], v[112:113], -v[118:119]
	v_fma_f64 v[122:123], v[122:123], -0.5, v[0:1]
	v_add_f64 v[120:121], v[120:121], v[118:119]
	v_fma_f64 v[0:1], v[130:131], s[2:3], v[122:123]
	v_fma_f64 v[122:123], v[130:131], s[14:15], v[122:123]
	;; [unrolled: 1-line block ×4, first 2 shown]
	v_add_f64 v[126:127], v[106:107], v[108:109]
	v_fma_f64 v[0:1], v[132:133], s[4:5], v[0:1]
	v_fma_f64 v[135:136], v[132:133], s[4:5], v[122:123]
	v_fma_f64 v[130:131], v[126:127], -0.5, v[2:3]
	v_add_f64 v[126:127], v[110:111], -v[108:109]
	v_add_f64 v[122:123], v[2:3], v[104:105]
	v_fma_f64 v[118:119], v[112:113], s[2:3], v[130:131]
	v_add_f64 v[122:123], v[122:123], v[106:107]
	v_fma_f64 v[116:117], v[114:115], s[8:9], v[118:119]
	v_add_f64 v[118:119], v[104:105], -v[106:107]
	v_add_f64 v[122:123], v[122:123], v[108:109]
	v_add_f64 v[118:119], v[118:119], v[126:127]
	v_add_f64 v[122:123], v[122:123], v[110:111]
	v_fma_f64 v[126:127], v[118:119], s[4:5], v[116:117]
	v_fma_f64 v[116:117], v[112:113], s[14:15], v[130:131]
	;; [unrolled: 1-line block ×4, first 2 shown]
	v_add_f64 v[116:117], v[104:105], v[110:111]
	v_add_f64 v[104:105], v[106:107], -v[104:105]
	v_add_f64 v[106:107], v[108:109], -v[110:111]
	v_fma_f64 v[116:117], v[116:117], -0.5, v[2:3]
	v_add_f64 v[104:105], v[104:105], v[106:107]
	v_fma_f64 v[2:3], v[114:115], s[14:15], v[116:117]
	v_fma_f64 v[106:107], v[114:115], s[2:3], v[116:117]
	s_mov_b32 s2, 0x9cbd821e
	s_mov_b32 s3, 0x3f3179ec
	v_fma_f64 v[2:3], v[112:113], s[8:9], v[2:3]
	v_fma_f64 v[106:107], v[112:113], s[6:7], v[106:107]
	s_mul_hi_u32 s6, s0, 0xffff6b90
	s_sub_i32 s6, s6, s0
	v_fma_f64 v[2:3], v[104:105], s[4:5], v[2:3]
	v_fma_f64 v[137:138], v[104:105], s[4:5], v[106:107]
	ds_write_b128 v134, v[8:11]
	ds_write_b128 v134, v[16:19] offset:12000
	ds_write_b128 v134, v[24:27] offset:24000
	;; [unrolled: 1-line block ×29, first 2 shown]
	s_waitcnt lgkmcnt(0)
	s_barrier
	buffer_gl0_inv
	ds_read_b128 v[0:3], v134
	s_clause 0x3
	buffer_load_dword v6, off, s[28:31], 0 offset:40
	buffer_load_dword v7, off, s[28:31], 0 offset:44
	;; [unrolled: 1-line block ×4, first 2 shown]
	s_mul_i32 s4, s1, 0x4e20
	s_mul_hi_u32 s5, s0, 0x4e20
	s_add_i32 s4, s5, s4
	s_mul_i32 s5, s0, 0x4e20
	s_waitcnt vmcnt(0) lgkmcnt(0)
	v_mul_f64 v[4:5], v[8:9], v[2:3]
	v_fma_f64 v[4:5], v[6:7], v[0:1], v[4:5]
	v_mul_f64 v[0:1], v[8:9], v[0:1]
	v_mul_f64 v[4:5], v[4:5], s[2:3]
	v_fma_f64 v[0:1], v[6:7], v[2:3], -v[0:1]
	buffer_load_dword v2, off, s[28:31], 0 offset:488 ; 4-byte Folded Reload
	v_mul_f64 v[6:7], v[0:1], s[2:3]
	s_waitcnt vmcnt(0)
	v_mad_u64_u32 v[0:1], null, s0, v2, 0
	s_mul_i32 s0, s0, 0xffff6b90
	v_mad_u64_u32 v[1:2], null, s1, v2, v[1:2]
	s_clause 0x1
	buffer_load_dword v2, off, s[28:31], 0
	buffer_load_dword v3, off, s[28:31], 0 offset:4
	s_mul_i32 s1, s1, 0xffff6b90
	s_add_i32 s1, s6, s1
	v_lshlrev_b64 v[0:1], 4, v[0:1]
	s_waitcnt vmcnt(0)
	v_lshlrev_b64 v[2:3], 4, v[2:3]
	v_add_co_u32 v2, vcc_lo, s12, v2
	v_add_co_ci_u32_e32 v3, vcc_lo, s13, v3, vcc_lo
	v_add_co_u32 v8, vcc_lo, v2, v0
	v_add_co_ci_u32_e32 v9, vcc_lo, v3, v1, vcc_lo
	ds_read_b128 v[0:3], v134 offset:20000
	global_store_dwordx4 v[8:9], v[4:7], off
	s_clause 0x3
	buffer_load_dword v10, off, s[28:31], 0 offset:24
	buffer_load_dword v11, off, s[28:31], 0 offset:28
	buffer_load_dword v12, off, s[28:31], 0 offset:32
	buffer_load_dword v13, off, s[28:31], 0 offset:36
	v_add_co_u32 v8, vcc_lo, v8, s5
	v_add_co_ci_u32_e32 v9, vcc_lo, s4, v9, vcc_lo
	s_waitcnt vmcnt(0) lgkmcnt(0)
	v_mul_f64 v[4:5], v[12:13], v[2:3]
	v_fma_f64 v[4:5], v[10:11], v[0:1], v[4:5]
	v_mul_f64 v[0:1], v[12:13], v[0:1]
	v_mul_f64 v[4:5], v[4:5], s[2:3]
	v_fma_f64 v[0:1], v[10:11], v[2:3], -v[0:1]
	v_mul_f64 v[6:7], v[0:1], s[2:3]
	ds_read_b128 v[0:3], v134 offset:40000
	global_store_dwordx4 v[8:9], v[4:7], off
	s_clause 0x3
	buffer_load_dword v10, off, s[28:31], 0 offset:8
	buffer_load_dword v11, off, s[28:31], 0 offset:12
	buffer_load_dword v12, off, s[28:31], 0 offset:16
	buffer_load_dword v13, off, s[28:31], 0 offset:20
	v_add_co_u32 v8, vcc_lo, v8, s5
	v_add_co_ci_u32_e32 v9, vcc_lo, s4, v9, vcc_lo
	s_waitcnt vmcnt(0) lgkmcnt(0)
	v_mul_f64 v[4:5], v[12:13], v[2:3]
	v_fma_f64 v[4:5], v[10:11], v[0:1], v[4:5]
	v_mul_f64 v[0:1], v[12:13], v[0:1]
	v_mul_f64 v[4:5], v[4:5], s[2:3]
	v_fma_f64 v[0:1], v[10:11], v[2:3], -v[0:1]
	v_mul_f64 v[6:7], v[0:1], s[2:3]
	;; [unrolled: 16-line block ×26, first 2 shown]
	ds_read_b128 v[0:3], v134 offset:18000
	global_store_dwordx4 v[8:9], v[4:7], off
	s_clause 0x3
	buffer_load_dword v10, off, s[28:31], 0 offset:456
	buffer_load_dword v11, off, s[28:31], 0 offset:460
	;; [unrolled: 1-line block ×4, first 2 shown]
	s_waitcnt vmcnt(0) lgkmcnt(0)
	v_mul_f64 v[4:5], v[12:13], v[2:3]
	v_fma_f64 v[4:5], v[10:11], v[0:1], v[4:5]
	v_mul_f64 v[0:1], v[12:13], v[0:1]
	v_mul_f64 v[4:5], v[4:5], s[2:3]
	v_fma_f64 v[0:1], v[10:11], v[2:3], -v[0:1]
	v_add_co_u32 v10, vcc_lo, v8, s0
	v_add_co_ci_u32_e32 v11, vcc_lo, s1, v9, vcc_lo
	v_mul_f64 v[6:7], v[0:1], s[2:3]
	ds_read_b128 v[0:3], v134 offset:38000
	global_store_dwordx4 v[10:11], v[4:7], off
	s_clause 0x3
	buffer_load_dword v12, off, s[28:31], 0 offset:472
	buffer_load_dword v13, off, s[28:31], 0 offset:476
	;; [unrolled: 1-line block ×4, first 2 shown]
	s_waitcnt vmcnt(0) lgkmcnt(0)
	v_mul_f64 v[4:5], v[14:15], v[2:3]
	v_fma_f64 v[4:5], v[12:13], v[0:1], v[4:5]
	v_mul_f64 v[0:1], v[14:15], v[0:1]
	v_mul_f64 v[6:7], v[4:5], s[2:3]
	v_fma_f64 v[0:1], v[12:13], v[2:3], -v[0:1]
	v_add_co_u32 v4, vcc_lo, v10, s5
	v_add_co_ci_u32_e32 v5, vcc_lo, s4, v11, vcc_lo
	v_mul_f64 v[8:9], v[0:1], s[2:3]
	ds_read_b128 v[0:3], v134 offset:58000
	global_store_dwordx4 v[4:5], v[6:9], off
	s_clause 0x3
	buffer_load_dword v8, off, s[28:31], 0 offset:56
	buffer_load_dword v9, off, s[28:31], 0 offset:60
	;; [unrolled: 1-line block ×4, first 2 shown]
	s_waitcnt vmcnt(0) lgkmcnt(0)
	v_mul_f64 v[6:7], v[10:11], v[2:3]
	v_fma_f64 v[6:7], v[8:9], v[0:1], v[6:7]
	v_mul_f64 v[0:1], v[10:11], v[0:1]
	v_mul_f64 v[6:7], v[6:7], s[2:3]
	v_fma_f64 v[0:1], v[8:9], v[2:3], -v[0:1]
	v_mul_f64 v[8:9], v[0:1], s[2:3]
	v_add_co_u32 v0, vcc_lo, v4, s5
	v_add_co_ci_u32_e32 v1, vcc_lo, s4, v5, vcc_lo
	global_store_dwordx4 v[0:1], v[6:9], off
.LBB0_2:
	s_endpgm
	.section	.rodata,"a",@progbits
	.p2align	6, 0x0
	.amdhsa_kernel bluestein_single_back_len3750_dim1_dp_op_CI_CI
		.amdhsa_group_segment_fixed_size 60000
		.amdhsa_private_segment_fixed_size 1844
		.amdhsa_kernarg_size 104
		.amdhsa_user_sgpr_count 6
		.amdhsa_user_sgpr_private_segment_buffer 1
		.amdhsa_user_sgpr_dispatch_ptr 0
		.amdhsa_user_sgpr_queue_ptr 0
		.amdhsa_user_sgpr_kernarg_segment_ptr 1
		.amdhsa_user_sgpr_dispatch_id 0
		.amdhsa_user_sgpr_flat_scratch_init 0
		.amdhsa_user_sgpr_private_segment_size 0
		.amdhsa_wavefront_size32 1
		.amdhsa_uses_dynamic_stack 0
		.amdhsa_system_sgpr_private_segment_wavefront_offset 1
		.amdhsa_system_sgpr_workgroup_id_x 1
		.amdhsa_system_sgpr_workgroup_id_y 0
		.amdhsa_system_sgpr_workgroup_id_z 0
		.amdhsa_system_sgpr_workgroup_info 0
		.amdhsa_system_vgpr_workitem_id 0
		.amdhsa_next_free_vgpr 256
		.amdhsa_next_free_sgpr 32
		.amdhsa_reserve_vcc 1
		.amdhsa_reserve_flat_scratch 0
		.amdhsa_float_round_mode_32 0
		.amdhsa_float_round_mode_16_64 0
		.amdhsa_float_denorm_mode_32 3
		.amdhsa_float_denorm_mode_16_64 3
		.amdhsa_dx10_clamp 1
		.amdhsa_ieee_mode 1
		.amdhsa_fp16_overflow 0
		.amdhsa_workgroup_processor_mode 1
		.amdhsa_memory_ordered 1
		.amdhsa_forward_progress 0
		.amdhsa_shared_vgpr_count 0
		.amdhsa_exception_fp_ieee_invalid_op 0
		.amdhsa_exception_fp_denorm_src 0
		.amdhsa_exception_fp_ieee_div_zero 0
		.amdhsa_exception_fp_ieee_overflow 0
		.amdhsa_exception_fp_ieee_underflow 0
		.amdhsa_exception_fp_ieee_inexact 0
		.amdhsa_exception_int_div_zero 0
	.end_amdhsa_kernel
	.text
.Lfunc_end0:
	.size	bluestein_single_back_len3750_dim1_dp_op_CI_CI, .Lfunc_end0-bluestein_single_back_len3750_dim1_dp_op_CI_CI
                                        ; -- End function
	.section	.AMDGPU.csdata,"",@progbits
; Kernel info:
; codeLenInByte = 56084
; NumSgprs: 34
; NumVgprs: 256
; ScratchSize: 1844
; MemoryBound: 0
; FloatMode: 240
; IeeeMode: 1
; LDSByteSize: 60000 bytes/workgroup (compile time only)
; SGPRBlocks: 4
; VGPRBlocks: 31
; NumSGPRsForWavesPerEU: 34
; NumVGPRsForWavesPerEU: 256
; Occupancy: 2
; WaveLimiterHint : 1
; COMPUTE_PGM_RSRC2:SCRATCH_EN: 1
; COMPUTE_PGM_RSRC2:USER_SGPR: 6
; COMPUTE_PGM_RSRC2:TRAP_HANDLER: 0
; COMPUTE_PGM_RSRC2:TGID_X_EN: 1
; COMPUTE_PGM_RSRC2:TGID_Y_EN: 0
; COMPUTE_PGM_RSRC2:TGID_Z_EN: 0
; COMPUTE_PGM_RSRC2:TIDIG_COMP_CNT: 0
	.text
	.p2alignl 6, 3214868480
	.fill 48, 4, 3214868480
	.type	__hip_cuid_1a917fc45f4b620,@object ; @__hip_cuid_1a917fc45f4b620
	.section	.bss,"aw",@nobits
	.globl	__hip_cuid_1a917fc45f4b620
__hip_cuid_1a917fc45f4b620:
	.byte	0                               ; 0x0
	.size	__hip_cuid_1a917fc45f4b620, 1

	.ident	"AMD clang version 19.0.0git (https://github.com/RadeonOpenCompute/llvm-project roc-6.4.0 25133 c7fe45cf4b819c5991fe208aaa96edf142730f1d)"
	.section	".note.GNU-stack","",@progbits
	.addrsig
	.addrsig_sym __hip_cuid_1a917fc45f4b620
	.amdgpu_metadata
---
amdhsa.kernels:
  - .args:
      - .actual_access:  read_only
        .address_space:  global
        .offset:         0
        .size:           8
        .value_kind:     global_buffer
      - .actual_access:  read_only
        .address_space:  global
        .offset:         8
        .size:           8
        .value_kind:     global_buffer
      - .actual_access:  read_only
        .address_space:  global
        .offset:         16
        .size:           8
        .value_kind:     global_buffer
      - .actual_access:  read_only
        .address_space:  global
        .offset:         24
        .size:           8
        .value_kind:     global_buffer
      - .actual_access:  read_only
        .address_space:  global
        .offset:         32
        .size:           8
        .value_kind:     global_buffer
      - .offset:         40
        .size:           8
        .value_kind:     by_value
      - .address_space:  global
        .offset:         48
        .size:           8
        .value_kind:     global_buffer
      - .address_space:  global
        .offset:         56
        .size:           8
        .value_kind:     global_buffer
      - .address_space:  global
        .offset:         64
        .size:           8
        .value_kind:     global_buffer
      - .address_space:  global
        .offset:         72
        .size:           8
        .value_kind:     global_buffer
      - .offset:         80
        .size:           4
        .value_kind:     by_value
      - .address_space:  global
        .offset:         88
        .size:           8
        .value_kind:     global_buffer
      - .address_space:  global
        .offset:         96
        .size:           8
        .value_kind:     global_buffer
    .group_segment_fixed_size: 60000
    .kernarg_segment_align: 8
    .kernarg_segment_size: 104
    .language:       OpenCL C
    .language_version:
      - 2
      - 0
    .max_flat_workgroup_size: 125
    .name:           bluestein_single_back_len3750_dim1_dp_op_CI_CI
    .private_segment_fixed_size: 1844
    .sgpr_count:     34
    .sgpr_spill_count: 0
    .symbol:         bluestein_single_back_len3750_dim1_dp_op_CI_CI.kd
    .uniform_work_group_size: 1
    .uses_dynamic_stack: false
    .vgpr_count:     256
    .vgpr_spill_count: 460
    .wavefront_size: 32
    .workgroup_processor_mode: 1
amdhsa.target:   amdgcn-amd-amdhsa--gfx1030
amdhsa.version:
  - 1
  - 2
...

	.end_amdgpu_metadata
